;; amdgpu-corpus repo=ROCm/rocSPARSE kind=compiled arch=gfx1250 opt=O3
	.amdgcn_target "amdgcn-amd-amdhsa--gfx1250"
	.amdhsa_code_object_version 6
	.section	.text._ZN9rocsparseL25kernel_set_identity_arrayILj1024EiiEEvT1_PT0_,"axG",@progbits,_ZN9rocsparseL25kernel_set_identity_arrayILj1024EiiEEvT1_PT0_,comdat
	.globl	_ZN9rocsparseL25kernel_set_identity_arrayILj1024EiiEEvT1_PT0_ ; -- Begin function _ZN9rocsparseL25kernel_set_identity_arrayILj1024EiiEEvT1_PT0_
	.p2align	8
	.type	_ZN9rocsparseL25kernel_set_identity_arrayILj1024EiiEEvT1_PT0_,@function
_ZN9rocsparseL25kernel_set_identity_arrayILj1024EiiEEvT1_PT0_: ; @_ZN9rocsparseL25kernel_set_identity_arrayILj1024EiiEEvT1_PT0_
; %bb.0:
	s_clause 0x1
	s_load_b32 s2, s[0:1], 0x1c
	s_load_b32 s3, s[0:1], 0x0
	s_bfe_u32 s4, ttmp6, 0x4000c
	s_and_b32 s5, ttmp6, 15
	s_add_co_i32 s4, s4, 1
	s_getreg_b32 s6, hwreg(HW_REG_IB_STS2, 6, 4)
	s_mul_i32 s4, ttmp9, s4
	s_delay_alu instid0(SALU_CYCLE_1) | instskip(SKIP_4) | instid1(SALU_CYCLE_1)
	s_add_co_i32 s5, s5, s4
	s_wait_kmcnt 0x0
	s_and_b32 s2, s2, 0xffff
	s_cmp_eq_u32 s6, 0
	s_cselect_b32 s4, ttmp9, s5
	v_mad_u32 v0, s4, s2, v0
	s_mov_b32 s2, exec_lo
	s_delay_alu instid0(VALU_DEP_1)
	v_cmpx_gt_i32_e64 s3, v0
	s_cbranch_execz .LBB0_2
; %bb.1:
	s_load_b64 s[0:1], s[0:1], 0x8
	v_mov_b32_e32 v1, 1
	s_wait_kmcnt 0x0
	global_store_b32 v0, v1, s[0:1] scale_offset
.LBB0_2:
	s_endpgm
	.section	.rodata,"a",@progbits
	.p2align	6, 0x0
	.amdhsa_kernel _ZN9rocsparseL25kernel_set_identity_arrayILj1024EiiEEvT1_PT0_
		.amdhsa_group_segment_fixed_size 0
		.amdhsa_private_segment_fixed_size 0
		.amdhsa_kernarg_size 272
		.amdhsa_user_sgpr_count 2
		.amdhsa_user_sgpr_dispatch_ptr 0
		.amdhsa_user_sgpr_queue_ptr 0
		.amdhsa_user_sgpr_kernarg_segment_ptr 1
		.amdhsa_user_sgpr_dispatch_id 0
		.amdhsa_user_sgpr_kernarg_preload_length 0
		.amdhsa_user_sgpr_kernarg_preload_offset 0
		.amdhsa_user_sgpr_private_segment_size 0
		.amdhsa_wavefront_size32 1
		.amdhsa_uses_dynamic_stack 0
		.amdhsa_enable_private_segment 0
		.amdhsa_system_sgpr_workgroup_id_x 1
		.amdhsa_system_sgpr_workgroup_id_y 0
		.amdhsa_system_sgpr_workgroup_id_z 0
		.amdhsa_system_sgpr_workgroup_info 0
		.amdhsa_system_vgpr_workitem_id 0
		.amdhsa_next_free_vgpr 2
		.amdhsa_next_free_sgpr 7
		.amdhsa_named_barrier_count 0
		.amdhsa_reserve_vcc 0
		.amdhsa_float_round_mode_32 0
		.amdhsa_float_round_mode_16_64 0
		.amdhsa_float_denorm_mode_32 3
		.amdhsa_float_denorm_mode_16_64 3
		.amdhsa_fp16_overflow 0
		.amdhsa_memory_ordered 1
		.amdhsa_forward_progress 1
		.amdhsa_inst_pref_size 2
		.amdhsa_round_robin_scheduling 0
		.amdhsa_exception_fp_ieee_invalid_op 0
		.amdhsa_exception_fp_denorm_src 0
		.amdhsa_exception_fp_ieee_div_zero 0
		.amdhsa_exception_fp_ieee_overflow 0
		.amdhsa_exception_fp_ieee_underflow 0
		.amdhsa_exception_fp_ieee_inexact 0
		.amdhsa_exception_int_div_zero 0
	.end_amdhsa_kernel
	.section	.text._ZN9rocsparseL25kernel_set_identity_arrayILj1024EiiEEvT1_PT0_,"axG",@progbits,_ZN9rocsparseL25kernel_set_identity_arrayILj1024EiiEEvT1_PT0_,comdat
.Lfunc_end0:
	.size	_ZN9rocsparseL25kernel_set_identity_arrayILj1024EiiEEvT1_PT0_, .Lfunc_end0-_ZN9rocsparseL25kernel_set_identity_arrayILj1024EiiEEvT1_PT0_
                                        ; -- End function
	.set _ZN9rocsparseL25kernel_set_identity_arrayILj1024EiiEEvT1_PT0_.num_vgpr, 2
	.set _ZN9rocsparseL25kernel_set_identity_arrayILj1024EiiEEvT1_PT0_.num_agpr, 0
	.set _ZN9rocsparseL25kernel_set_identity_arrayILj1024EiiEEvT1_PT0_.numbered_sgpr, 7
	.set _ZN9rocsparseL25kernel_set_identity_arrayILj1024EiiEEvT1_PT0_.num_named_barrier, 0
	.set _ZN9rocsparseL25kernel_set_identity_arrayILj1024EiiEEvT1_PT0_.private_seg_size, 0
	.set _ZN9rocsparseL25kernel_set_identity_arrayILj1024EiiEEvT1_PT0_.uses_vcc, 0
	.set _ZN9rocsparseL25kernel_set_identity_arrayILj1024EiiEEvT1_PT0_.uses_flat_scratch, 0
	.set _ZN9rocsparseL25kernel_set_identity_arrayILj1024EiiEEvT1_PT0_.has_dyn_sized_stack, 0
	.set _ZN9rocsparseL25kernel_set_identity_arrayILj1024EiiEEvT1_PT0_.has_recursion, 0
	.set _ZN9rocsparseL25kernel_set_identity_arrayILj1024EiiEEvT1_PT0_.has_indirect_call, 0
	.section	.AMDGPU.csdata,"",@progbits
; Kernel info:
; codeLenInByte = 132
; TotalNumSgprs: 7
; NumVgprs: 2
; ScratchSize: 0
; MemoryBound: 0
; FloatMode: 240
; IeeeMode: 1
; LDSByteSize: 0 bytes/workgroup (compile time only)
; SGPRBlocks: 0
; VGPRBlocks: 0
; NumSGPRsForWavesPerEU: 7
; NumVGPRsForWavesPerEU: 2
; NamedBarCnt: 0
; Occupancy: 16
; WaveLimiterHint : 0
; COMPUTE_PGM_RSRC2:SCRATCH_EN: 0
; COMPUTE_PGM_RSRC2:USER_SGPR: 2
; COMPUTE_PGM_RSRC2:TRAP_HANDLER: 0
; COMPUTE_PGM_RSRC2:TGID_X_EN: 1
; COMPUTE_PGM_RSRC2:TGID_Y_EN: 0
; COMPUTE_PGM_RSRC2:TGID_Z_EN: 0
; COMPUTE_PGM_RSRC2:TIDIG_COMP_CNT: 0
	.section	.text._ZN9rocsparseL25kernel_get_permuted_arrayILj1024EiiEEvT1_PKT0_PS2_PKS1_,"axG",@progbits,_ZN9rocsparseL25kernel_get_permuted_arrayILj1024EiiEEvT1_PKT0_PS2_PKS1_,comdat
	.globl	_ZN9rocsparseL25kernel_get_permuted_arrayILj1024EiiEEvT1_PKT0_PS2_PKS1_ ; -- Begin function _ZN9rocsparseL25kernel_get_permuted_arrayILj1024EiiEEvT1_PKT0_PS2_PKS1_
	.p2align	8
	.type	_ZN9rocsparseL25kernel_get_permuted_arrayILj1024EiiEEvT1_PKT0_PS2_PKS1_,@function
_ZN9rocsparseL25kernel_get_permuted_arrayILj1024EiiEEvT1_PKT0_PS2_PKS1_: ; @_ZN9rocsparseL25kernel_get_permuted_arrayILj1024EiiEEvT1_PKT0_PS2_PKS1_
; %bb.0:
	s_clause 0x1
	s_load_b32 s2, s[0:1], 0x2c
	s_load_b32 s3, s[0:1], 0x0
	s_bfe_u32 s4, ttmp6, 0x4000c
	s_and_b32 s5, ttmp6, 15
	s_add_co_i32 s4, s4, 1
	s_getreg_b32 s6, hwreg(HW_REG_IB_STS2, 6, 4)
	s_mul_i32 s4, ttmp9, s4
	s_delay_alu instid0(SALU_CYCLE_1) | instskip(SKIP_4) | instid1(SALU_CYCLE_1)
	s_add_co_i32 s5, s5, s4
	s_wait_kmcnt 0x0
	s_and_b32 s2, s2, 0xffff
	s_cmp_eq_u32 s6, 0
	s_cselect_b32 s4, ttmp9, s5
	v_mad_u32 v0, s4, s2, v0
	s_mov_b32 s2, exec_lo
	s_delay_alu instid0(VALU_DEP_1)
	v_cmpx_gt_i32_e64 s3, v0
	s_cbranch_execz .LBB1_2
; %bb.1:
	s_clause 0x1
	s_load_b64 s[2:3], s[0:1], 0x18
	s_load_b128 s[4:7], s[0:1], 0x8
	s_wait_kmcnt 0x0
	global_load_b32 v1, v0, s[2:3] scale_offset
	s_wait_loadcnt 0x0
	global_load_b32 v1, v1, s[4:5] scale_offset
	s_wait_loadcnt 0x0
	global_store_b32 v0, v1, s[6:7] scale_offset
.LBB1_2:
	s_endpgm
	.section	.rodata,"a",@progbits
	.p2align	6, 0x0
	.amdhsa_kernel _ZN9rocsparseL25kernel_get_permuted_arrayILj1024EiiEEvT1_PKT0_PS2_PKS1_
		.amdhsa_group_segment_fixed_size 0
		.amdhsa_private_segment_fixed_size 0
		.amdhsa_kernarg_size 288
		.amdhsa_user_sgpr_count 2
		.amdhsa_user_sgpr_dispatch_ptr 0
		.amdhsa_user_sgpr_queue_ptr 0
		.amdhsa_user_sgpr_kernarg_segment_ptr 1
		.amdhsa_user_sgpr_dispatch_id 0
		.amdhsa_user_sgpr_kernarg_preload_length 0
		.amdhsa_user_sgpr_kernarg_preload_offset 0
		.amdhsa_user_sgpr_private_segment_size 0
		.amdhsa_wavefront_size32 1
		.amdhsa_uses_dynamic_stack 0
		.amdhsa_enable_private_segment 0
		.amdhsa_system_sgpr_workgroup_id_x 1
		.amdhsa_system_sgpr_workgroup_id_y 0
		.amdhsa_system_sgpr_workgroup_id_z 0
		.amdhsa_system_sgpr_workgroup_info 0
		.amdhsa_system_vgpr_workitem_id 0
		.amdhsa_next_free_vgpr 2
		.amdhsa_next_free_sgpr 8
		.amdhsa_named_barrier_count 0
		.amdhsa_reserve_vcc 0
		.amdhsa_float_round_mode_32 0
		.amdhsa_float_round_mode_16_64 0
		.amdhsa_float_denorm_mode_32 3
		.amdhsa_float_denorm_mode_16_64 3
		.amdhsa_fp16_overflow 0
		.amdhsa_memory_ordered 1
		.amdhsa_forward_progress 1
		.amdhsa_inst_pref_size 2
		.amdhsa_round_robin_scheduling 0
		.amdhsa_exception_fp_ieee_invalid_op 0
		.amdhsa_exception_fp_denorm_src 0
		.amdhsa_exception_fp_ieee_div_zero 0
		.amdhsa_exception_fp_ieee_overflow 0
		.amdhsa_exception_fp_ieee_underflow 0
		.amdhsa_exception_fp_ieee_inexact 0
		.amdhsa_exception_int_div_zero 0
	.end_amdhsa_kernel
	.section	.text._ZN9rocsparseL25kernel_get_permuted_arrayILj1024EiiEEvT1_PKT0_PS2_PKS1_,"axG",@progbits,_ZN9rocsparseL25kernel_get_permuted_arrayILj1024EiiEEvT1_PKT0_PS2_PKS1_,comdat
.Lfunc_end1:
	.size	_ZN9rocsparseL25kernel_get_permuted_arrayILj1024EiiEEvT1_PKT0_PS2_PKS1_, .Lfunc_end1-_ZN9rocsparseL25kernel_get_permuted_arrayILj1024EiiEEvT1_PKT0_PS2_PKS1_
                                        ; -- End function
	.set _ZN9rocsparseL25kernel_get_permuted_arrayILj1024EiiEEvT1_PKT0_PS2_PKS1_.num_vgpr, 2
	.set _ZN9rocsparseL25kernel_get_permuted_arrayILj1024EiiEEvT1_PKT0_PS2_PKS1_.num_agpr, 0
	.set _ZN9rocsparseL25kernel_get_permuted_arrayILj1024EiiEEvT1_PKT0_PS2_PKS1_.numbered_sgpr, 8
	.set _ZN9rocsparseL25kernel_get_permuted_arrayILj1024EiiEEvT1_PKT0_PS2_PKS1_.num_named_barrier, 0
	.set _ZN9rocsparseL25kernel_get_permuted_arrayILj1024EiiEEvT1_PKT0_PS2_PKS1_.private_seg_size, 0
	.set _ZN9rocsparseL25kernel_get_permuted_arrayILj1024EiiEEvT1_PKT0_PS2_PKS1_.uses_vcc, 0
	.set _ZN9rocsparseL25kernel_get_permuted_arrayILj1024EiiEEvT1_PKT0_PS2_PKS1_.uses_flat_scratch, 0
	.set _ZN9rocsparseL25kernel_get_permuted_arrayILj1024EiiEEvT1_PKT0_PS2_PKS1_.has_dyn_sized_stack, 0
	.set _ZN9rocsparseL25kernel_get_permuted_arrayILj1024EiiEEvT1_PKT0_PS2_PKS1_.has_recursion, 0
	.set _ZN9rocsparseL25kernel_get_permuted_arrayILj1024EiiEEvT1_PKT0_PS2_PKS1_.has_indirect_call, 0
	.section	.AMDGPU.csdata,"",@progbits
; Kernel info:
; codeLenInByte = 172
; TotalNumSgprs: 8
; NumVgprs: 2
; ScratchSize: 0
; MemoryBound: 0
; FloatMode: 240
; IeeeMode: 1
; LDSByteSize: 0 bytes/workgroup (compile time only)
; SGPRBlocks: 0
; VGPRBlocks: 0
; NumSGPRsForWavesPerEU: 8
; NumVGPRsForWavesPerEU: 2
; NamedBarCnt: 0
; Occupancy: 16
; WaveLimiterHint : 1
; COMPUTE_PGM_RSRC2:SCRATCH_EN: 0
; COMPUTE_PGM_RSRC2:USER_SGPR: 2
; COMPUTE_PGM_RSRC2:TRAP_HANDLER: 0
; COMPUTE_PGM_RSRC2:TGID_X_EN: 1
; COMPUTE_PGM_RSRC2:TGID_Y_EN: 0
; COMPUTE_PGM_RSRC2:TGID_Z_EN: 0
; COMPUTE_PGM_RSRC2:TIDIG_COMP_CNT: 0
	.section	.text._ZN9rocsparseL25kernel_set_permuted_arrayILj1024EiiEEvT1_PT0_PKS2_PKS1_,"axG",@progbits,_ZN9rocsparseL25kernel_set_permuted_arrayILj1024EiiEEvT1_PT0_PKS2_PKS1_,comdat
	.globl	_ZN9rocsparseL25kernel_set_permuted_arrayILj1024EiiEEvT1_PT0_PKS2_PKS1_ ; -- Begin function _ZN9rocsparseL25kernel_set_permuted_arrayILj1024EiiEEvT1_PT0_PKS2_PKS1_
	.p2align	8
	.type	_ZN9rocsparseL25kernel_set_permuted_arrayILj1024EiiEEvT1_PT0_PKS2_PKS1_,@function
_ZN9rocsparseL25kernel_set_permuted_arrayILj1024EiiEEvT1_PT0_PKS2_PKS1_: ; @_ZN9rocsparseL25kernel_set_permuted_arrayILj1024EiiEEvT1_PT0_PKS2_PKS1_
; %bb.0:
	s_clause 0x1
	s_load_b32 s2, s[0:1], 0x2c
	s_load_b32 s3, s[0:1], 0x0
	s_bfe_u32 s4, ttmp6, 0x4000c
	s_and_b32 s5, ttmp6, 15
	s_add_co_i32 s4, s4, 1
	s_getreg_b32 s6, hwreg(HW_REG_IB_STS2, 6, 4)
	s_mul_i32 s4, ttmp9, s4
	s_delay_alu instid0(SALU_CYCLE_1) | instskip(SKIP_4) | instid1(SALU_CYCLE_1)
	s_add_co_i32 s5, s5, s4
	s_wait_kmcnt 0x0
	s_and_b32 s2, s2, 0xffff
	s_cmp_eq_u32 s6, 0
	s_cselect_b32 s4, ttmp9, s5
	v_mad_u32 v0, s4, s2, v0
	s_mov_b32 s2, exec_lo
	s_delay_alu instid0(VALU_DEP_1)
	v_cmpx_gt_i32_e64 s3, v0
	s_cbranch_execz .LBB2_2
; %bb.1:
	s_clause 0x1
	s_load_b128 s[4:7], s[0:1], 0x8
	s_load_b64 s[2:3], s[0:1], 0x18
	s_wait_kmcnt 0x0
	s_clause 0x1
	global_load_b32 v1, v0, s[6:7] scale_offset
	global_load_b32 v2, v0, s[2:3] scale_offset
	s_wait_loadcnt 0x0
	global_store_b32 v2, v1, s[4:5] scale_offset
.LBB2_2:
	s_endpgm
	.section	.rodata,"a",@progbits
	.p2align	6, 0x0
	.amdhsa_kernel _ZN9rocsparseL25kernel_set_permuted_arrayILj1024EiiEEvT1_PT0_PKS2_PKS1_
		.amdhsa_group_segment_fixed_size 0
		.amdhsa_private_segment_fixed_size 0
		.amdhsa_kernarg_size 288
		.amdhsa_user_sgpr_count 2
		.amdhsa_user_sgpr_dispatch_ptr 0
		.amdhsa_user_sgpr_queue_ptr 0
		.amdhsa_user_sgpr_kernarg_segment_ptr 1
		.amdhsa_user_sgpr_dispatch_id 0
		.amdhsa_user_sgpr_kernarg_preload_length 0
		.amdhsa_user_sgpr_kernarg_preload_offset 0
		.amdhsa_user_sgpr_private_segment_size 0
		.amdhsa_wavefront_size32 1
		.amdhsa_uses_dynamic_stack 0
		.amdhsa_enable_private_segment 0
		.amdhsa_system_sgpr_workgroup_id_x 1
		.amdhsa_system_sgpr_workgroup_id_y 0
		.amdhsa_system_sgpr_workgroup_id_z 0
		.amdhsa_system_sgpr_workgroup_info 0
		.amdhsa_system_vgpr_workitem_id 0
		.amdhsa_next_free_vgpr 3
		.amdhsa_next_free_sgpr 8
		.amdhsa_named_barrier_count 0
		.amdhsa_reserve_vcc 0
		.amdhsa_float_round_mode_32 0
		.amdhsa_float_round_mode_16_64 0
		.amdhsa_float_denorm_mode_32 3
		.amdhsa_float_denorm_mode_16_64 3
		.amdhsa_fp16_overflow 0
		.amdhsa_memory_ordered 1
		.amdhsa_forward_progress 1
		.amdhsa_inst_pref_size 2
		.amdhsa_round_robin_scheduling 0
		.amdhsa_exception_fp_ieee_invalid_op 0
		.amdhsa_exception_fp_denorm_src 0
		.amdhsa_exception_fp_ieee_div_zero 0
		.amdhsa_exception_fp_ieee_overflow 0
		.amdhsa_exception_fp_ieee_underflow 0
		.amdhsa_exception_fp_ieee_inexact 0
		.amdhsa_exception_int_div_zero 0
	.end_amdhsa_kernel
	.section	.text._ZN9rocsparseL25kernel_set_permuted_arrayILj1024EiiEEvT1_PT0_PKS2_PKS1_,"axG",@progbits,_ZN9rocsparseL25kernel_set_permuted_arrayILj1024EiiEEvT1_PT0_PKS2_PKS1_,comdat
.Lfunc_end2:
	.size	_ZN9rocsparseL25kernel_set_permuted_arrayILj1024EiiEEvT1_PT0_PKS2_PKS1_, .Lfunc_end2-_ZN9rocsparseL25kernel_set_permuted_arrayILj1024EiiEEvT1_PT0_PKS2_PKS1_
                                        ; -- End function
	.set _ZN9rocsparseL25kernel_set_permuted_arrayILj1024EiiEEvT1_PT0_PKS2_PKS1_.num_vgpr, 3
	.set _ZN9rocsparseL25kernel_set_permuted_arrayILj1024EiiEEvT1_PT0_PKS2_PKS1_.num_agpr, 0
	.set _ZN9rocsparseL25kernel_set_permuted_arrayILj1024EiiEEvT1_PT0_PKS2_PKS1_.numbered_sgpr, 8
	.set _ZN9rocsparseL25kernel_set_permuted_arrayILj1024EiiEEvT1_PT0_PKS2_PKS1_.num_named_barrier, 0
	.set _ZN9rocsparseL25kernel_set_permuted_arrayILj1024EiiEEvT1_PT0_PKS2_PKS1_.private_seg_size, 0
	.set _ZN9rocsparseL25kernel_set_permuted_arrayILj1024EiiEEvT1_PT0_PKS2_PKS1_.uses_vcc, 0
	.set _ZN9rocsparseL25kernel_set_permuted_arrayILj1024EiiEEvT1_PT0_PKS2_PKS1_.uses_flat_scratch, 0
	.set _ZN9rocsparseL25kernel_set_permuted_arrayILj1024EiiEEvT1_PT0_PKS2_PKS1_.has_dyn_sized_stack, 0
	.set _ZN9rocsparseL25kernel_set_permuted_arrayILj1024EiiEEvT1_PT0_PKS2_PKS1_.has_recursion, 0
	.set _ZN9rocsparseL25kernel_set_permuted_arrayILj1024EiiEEvT1_PT0_PKS2_PKS1_.has_indirect_call, 0
	.section	.AMDGPU.csdata,"",@progbits
; Kernel info:
; codeLenInByte = 172
; TotalNumSgprs: 8
; NumVgprs: 3
; ScratchSize: 0
; MemoryBound: 0
; FloatMode: 240
; IeeeMode: 1
; LDSByteSize: 0 bytes/workgroup (compile time only)
; SGPRBlocks: 0
; VGPRBlocks: 0
; NumSGPRsForWavesPerEU: 8
; NumVGPRsForWavesPerEU: 3
; NamedBarCnt: 0
; Occupancy: 16
; WaveLimiterHint : 1
; COMPUTE_PGM_RSRC2:SCRATCH_EN: 0
; COMPUTE_PGM_RSRC2:USER_SGPR: 2
; COMPUTE_PGM_RSRC2:TRAP_HANDLER: 0
; COMPUTE_PGM_RSRC2:TGID_X_EN: 1
; COMPUTE_PGM_RSRC2:TGID_Y_EN: 0
; COMPUTE_PGM_RSRC2:TGID_Z_EN: 0
; COMPUTE_PGM_RSRC2:TIDIG_COMP_CNT: 0
	.section	.text._ZN9rocsparseL25kernel_set_identity_arrayILj1024EfiEEvT1_PT0_,"axG",@progbits,_ZN9rocsparseL25kernel_set_identity_arrayILj1024EfiEEvT1_PT0_,comdat
	.globl	_ZN9rocsparseL25kernel_set_identity_arrayILj1024EfiEEvT1_PT0_ ; -- Begin function _ZN9rocsparseL25kernel_set_identity_arrayILj1024EfiEEvT1_PT0_
	.p2align	8
	.type	_ZN9rocsparseL25kernel_set_identity_arrayILj1024EfiEEvT1_PT0_,@function
_ZN9rocsparseL25kernel_set_identity_arrayILj1024EfiEEvT1_PT0_: ; @_ZN9rocsparseL25kernel_set_identity_arrayILj1024EfiEEvT1_PT0_
; %bb.0:
	s_clause 0x1
	s_load_b32 s2, s[0:1], 0x1c
	s_load_b32 s3, s[0:1], 0x0
	s_bfe_u32 s4, ttmp6, 0x4000c
	s_and_b32 s5, ttmp6, 15
	s_add_co_i32 s4, s4, 1
	s_getreg_b32 s6, hwreg(HW_REG_IB_STS2, 6, 4)
	s_mul_i32 s4, ttmp9, s4
	s_delay_alu instid0(SALU_CYCLE_1) | instskip(SKIP_4) | instid1(SALU_CYCLE_1)
	s_add_co_i32 s5, s5, s4
	s_wait_kmcnt 0x0
	s_and_b32 s2, s2, 0xffff
	s_cmp_eq_u32 s6, 0
	s_cselect_b32 s4, ttmp9, s5
	v_mad_u32 v0, s4, s2, v0
	s_mov_b32 s2, exec_lo
	s_delay_alu instid0(VALU_DEP_1)
	v_cmpx_gt_i32_e64 s3, v0
	s_cbranch_execz .LBB3_2
; %bb.1:
	s_load_b64 s[0:1], s[0:1], 0x8
	v_mov_b32_e32 v1, 1.0
	s_wait_kmcnt 0x0
	global_store_b32 v0, v1, s[0:1] scale_offset
.LBB3_2:
	s_endpgm
	.section	.rodata,"a",@progbits
	.p2align	6, 0x0
	.amdhsa_kernel _ZN9rocsparseL25kernel_set_identity_arrayILj1024EfiEEvT1_PT0_
		.amdhsa_group_segment_fixed_size 0
		.amdhsa_private_segment_fixed_size 0
		.amdhsa_kernarg_size 272
		.amdhsa_user_sgpr_count 2
		.amdhsa_user_sgpr_dispatch_ptr 0
		.amdhsa_user_sgpr_queue_ptr 0
		.amdhsa_user_sgpr_kernarg_segment_ptr 1
		.amdhsa_user_sgpr_dispatch_id 0
		.amdhsa_user_sgpr_kernarg_preload_length 0
		.amdhsa_user_sgpr_kernarg_preload_offset 0
		.amdhsa_user_sgpr_private_segment_size 0
		.amdhsa_wavefront_size32 1
		.amdhsa_uses_dynamic_stack 0
		.amdhsa_enable_private_segment 0
		.amdhsa_system_sgpr_workgroup_id_x 1
		.amdhsa_system_sgpr_workgroup_id_y 0
		.amdhsa_system_sgpr_workgroup_id_z 0
		.amdhsa_system_sgpr_workgroup_info 0
		.amdhsa_system_vgpr_workitem_id 0
		.amdhsa_next_free_vgpr 2
		.amdhsa_next_free_sgpr 7
		.amdhsa_named_barrier_count 0
		.amdhsa_reserve_vcc 0
		.amdhsa_float_round_mode_32 0
		.amdhsa_float_round_mode_16_64 0
		.amdhsa_float_denorm_mode_32 3
		.amdhsa_float_denorm_mode_16_64 3
		.amdhsa_fp16_overflow 0
		.amdhsa_memory_ordered 1
		.amdhsa_forward_progress 1
		.amdhsa_inst_pref_size 2
		.amdhsa_round_robin_scheduling 0
		.amdhsa_exception_fp_ieee_invalid_op 0
		.amdhsa_exception_fp_denorm_src 0
		.amdhsa_exception_fp_ieee_div_zero 0
		.amdhsa_exception_fp_ieee_overflow 0
		.amdhsa_exception_fp_ieee_underflow 0
		.amdhsa_exception_fp_ieee_inexact 0
		.amdhsa_exception_int_div_zero 0
	.end_amdhsa_kernel
	.section	.text._ZN9rocsparseL25kernel_set_identity_arrayILj1024EfiEEvT1_PT0_,"axG",@progbits,_ZN9rocsparseL25kernel_set_identity_arrayILj1024EfiEEvT1_PT0_,comdat
.Lfunc_end3:
	.size	_ZN9rocsparseL25kernel_set_identity_arrayILj1024EfiEEvT1_PT0_, .Lfunc_end3-_ZN9rocsparseL25kernel_set_identity_arrayILj1024EfiEEvT1_PT0_
                                        ; -- End function
	.set _ZN9rocsparseL25kernel_set_identity_arrayILj1024EfiEEvT1_PT0_.num_vgpr, 2
	.set _ZN9rocsparseL25kernel_set_identity_arrayILj1024EfiEEvT1_PT0_.num_agpr, 0
	.set _ZN9rocsparseL25kernel_set_identity_arrayILj1024EfiEEvT1_PT0_.numbered_sgpr, 7
	.set _ZN9rocsparseL25kernel_set_identity_arrayILj1024EfiEEvT1_PT0_.num_named_barrier, 0
	.set _ZN9rocsparseL25kernel_set_identity_arrayILj1024EfiEEvT1_PT0_.private_seg_size, 0
	.set _ZN9rocsparseL25kernel_set_identity_arrayILj1024EfiEEvT1_PT0_.uses_vcc, 0
	.set _ZN9rocsparseL25kernel_set_identity_arrayILj1024EfiEEvT1_PT0_.uses_flat_scratch, 0
	.set _ZN9rocsparseL25kernel_set_identity_arrayILj1024EfiEEvT1_PT0_.has_dyn_sized_stack, 0
	.set _ZN9rocsparseL25kernel_set_identity_arrayILj1024EfiEEvT1_PT0_.has_recursion, 0
	.set _ZN9rocsparseL25kernel_set_identity_arrayILj1024EfiEEvT1_PT0_.has_indirect_call, 0
	.section	.AMDGPU.csdata,"",@progbits
; Kernel info:
; codeLenInByte = 132
; TotalNumSgprs: 7
; NumVgprs: 2
; ScratchSize: 0
; MemoryBound: 0
; FloatMode: 240
; IeeeMode: 1
; LDSByteSize: 0 bytes/workgroup (compile time only)
; SGPRBlocks: 0
; VGPRBlocks: 0
; NumSGPRsForWavesPerEU: 7
; NumVGPRsForWavesPerEU: 2
; NamedBarCnt: 0
; Occupancy: 16
; WaveLimiterHint : 0
; COMPUTE_PGM_RSRC2:SCRATCH_EN: 0
; COMPUTE_PGM_RSRC2:USER_SGPR: 2
; COMPUTE_PGM_RSRC2:TRAP_HANDLER: 0
; COMPUTE_PGM_RSRC2:TGID_X_EN: 1
; COMPUTE_PGM_RSRC2:TGID_Y_EN: 0
; COMPUTE_PGM_RSRC2:TGID_Z_EN: 0
; COMPUTE_PGM_RSRC2:TIDIG_COMP_CNT: 0
	.section	.text._ZN9rocsparseL25kernel_get_permuted_arrayILj1024EfiEEvT1_PKT0_PS2_PKS1_,"axG",@progbits,_ZN9rocsparseL25kernel_get_permuted_arrayILj1024EfiEEvT1_PKT0_PS2_PKS1_,comdat
	.globl	_ZN9rocsparseL25kernel_get_permuted_arrayILj1024EfiEEvT1_PKT0_PS2_PKS1_ ; -- Begin function _ZN9rocsparseL25kernel_get_permuted_arrayILj1024EfiEEvT1_PKT0_PS2_PKS1_
	.p2align	8
	.type	_ZN9rocsparseL25kernel_get_permuted_arrayILj1024EfiEEvT1_PKT0_PS2_PKS1_,@function
_ZN9rocsparseL25kernel_get_permuted_arrayILj1024EfiEEvT1_PKT0_PS2_PKS1_: ; @_ZN9rocsparseL25kernel_get_permuted_arrayILj1024EfiEEvT1_PKT0_PS2_PKS1_
; %bb.0:
	s_clause 0x1
	s_load_b32 s2, s[0:1], 0x2c
	s_load_b32 s3, s[0:1], 0x0
	s_bfe_u32 s4, ttmp6, 0x4000c
	s_and_b32 s5, ttmp6, 15
	s_add_co_i32 s4, s4, 1
	s_getreg_b32 s6, hwreg(HW_REG_IB_STS2, 6, 4)
	s_mul_i32 s4, ttmp9, s4
	s_delay_alu instid0(SALU_CYCLE_1) | instskip(SKIP_4) | instid1(SALU_CYCLE_1)
	s_add_co_i32 s5, s5, s4
	s_wait_kmcnt 0x0
	s_and_b32 s2, s2, 0xffff
	s_cmp_eq_u32 s6, 0
	s_cselect_b32 s4, ttmp9, s5
	v_mad_u32 v0, s4, s2, v0
	s_mov_b32 s2, exec_lo
	s_delay_alu instid0(VALU_DEP_1)
	v_cmpx_gt_i32_e64 s3, v0
	s_cbranch_execz .LBB4_2
; %bb.1:
	s_clause 0x1
	s_load_b64 s[2:3], s[0:1], 0x18
	s_load_b128 s[4:7], s[0:1], 0x8
	s_wait_kmcnt 0x0
	global_load_b32 v1, v0, s[2:3] scale_offset
	s_wait_loadcnt 0x0
	global_load_b32 v1, v1, s[4:5] scale_offset
	s_wait_loadcnt 0x0
	global_store_b32 v0, v1, s[6:7] scale_offset
.LBB4_2:
	s_endpgm
	.section	.rodata,"a",@progbits
	.p2align	6, 0x0
	.amdhsa_kernel _ZN9rocsparseL25kernel_get_permuted_arrayILj1024EfiEEvT1_PKT0_PS2_PKS1_
		.amdhsa_group_segment_fixed_size 0
		.amdhsa_private_segment_fixed_size 0
		.amdhsa_kernarg_size 288
		.amdhsa_user_sgpr_count 2
		.amdhsa_user_sgpr_dispatch_ptr 0
		.amdhsa_user_sgpr_queue_ptr 0
		.amdhsa_user_sgpr_kernarg_segment_ptr 1
		.amdhsa_user_sgpr_dispatch_id 0
		.amdhsa_user_sgpr_kernarg_preload_length 0
		.amdhsa_user_sgpr_kernarg_preload_offset 0
		.amdhsa_user_sgpr_private_segment_size 0
		.amdhsa_wavefront_size32 1
		.amdhsa_uses_dynamic_stack 0
		.amdhsa_enable_private_segment 0
		.amdhsa_system_sgpr_workgroup_id_x 1
		.amdhsa_system_sgpr_workgroup_id_y 0
		.amdhsa_system_sgpr_workgroup_id_z 0
		.amdhsa_system_sgpr_workgroup_info 0
		.amdhsa_system_vgpr_workitem_id 0
		.amdhsa_next_free_vgpr 2
		.amdhsa_next_free_sgpr 8
		.amdhsa_named_barrier_count 0
		.amdhsa_reserve_vcc 0
		.amdhsa_float_round_mode_32 0
		.amdhsa_float_round_mode_16_64 0
		.amdhsa_float_denorm_mode_32 3
		.amdhsa_float_denorm_mode_16_64 3
		.amdhsa_fp16_overflow 0
		.amdhsa_memory_ordered 1
		.amdhsa_forward_progress 1
		.amdhsa_inst_pref_size 2
		.amdhsa_round_robin_scheduling 0
		.amdhsa_exception_fp_ieee_invalid_op 0
		.amdhsa_exception_fp_denorm_src 0
		.amdhsa_exception_fp_ieee_div_zero 0
		.amdhsa_exception_fp_ieee_overflow 0
		.amdhsa_exception_fp_ieee_underflow 0
		.amdhsa_exception_fp_ieee_inexact 0
		.amdhsa_exception_int_div_zero 0
	.end_amdhsa_kernel
	.section	.text._ZN9rocsparseL25kernel_get_permuted_arrayILj1024EfiEEvT1_PKT0_PS2_PKS1_,"axG",@progbits,_ZN9rocsparseL25kernel_get_permuted_arrayILj1024EfiEEvT1_PKT0_PS2_PKS1_,comdat
.Lfunc_end4:
	.size	_ZN9rocsparseL25kernel_get_permuted_arrayILj1024EfiEEvT1_PKT0_PS2_PKS1_, .Lfunc_end4-_ZN9rocsparseL25kernel_get_permuted_arrayILj1024EfiEEvT1_PKT0_PS2_PKS1_
                                        ; -- End function
	.set _ZN9rocsparseL25kernel_get_permuted_arrayILj1024EfiEEvT1_PKT0_PS2_PKS1_.num_vgpr, 2
	.set _ZN9rocsparseL25kernel_get_permuted_arrayILj1024EfiEEvT1_PKT0_PS2_PKS1_.num_agpr, 0
	.set _ZN9rocsparseL25kernel_get_permuted_arrayILj1024EfiEEvT1_PKT0_PS2_PKS1_.numbered_sgpr, 8
	.set _ZN9rocsparseL25kernel_get_permuted_arrayILj1024EfiEEvT1_PKT0_PS2_PKS1_.num_named_barrier, 0
	.set _ZN9rocsparseL25kernel_get_permuted_arrayILj1024EfiEEvT1_PKT0_PS2_PKS1_.private_seg_size, 0
	.set _ZN9rocsparseL25kernel_get_permuted_arrayILj1024EfiEEvT1_PKT0_PS2_PKS1_.uses_vcc, 0
	.set _ZN9rocsparseL25kernel_get_permuted_arrayILj1024EfiEEvT1_PKT0_PS2_PKS1_.uses_flat_scratch, 0
	.set _ZN9rocsparseL25kernel_get_permuted_arrayILj1024EfiEEvT1_PKT0_PS2_PKS1_.has_dyn_sized_stack, 0
	.set _ZN9rocsparseL25kernel_get_permuted_arrayILj1024EfiEEvT1_PKT0_PS2_PKS1_.has_recursion, 0
	.set _ZN9rocsparseL25kernel_get_permuted_arrayILj1024EfiEEvT1_PKT0_PS2_PKS1_.has_indirect_call, 0
	.section	.AMDGPU.csdata,"",@progbits
; Kernel info:
; codeLenInByte = 172
; TotalNumSgprs: 8
; NumVgprs: 2
; ScratchSize: 0
; MemoryBound: 0
; FloatMode: 240
; IeeeMode: 1
; LDSByteSize: 0 bytes/workgroup (compile time only)
; SGPRBlocks: 0
; VGPRBlocks: 0
; NumSGPRsForWavesPerEU: 8
; NumVGPRsForWavesPerEU: 2
; NamedBarCnt: 0
; Occupancy: 16
; WaveLimiterHint : 1
; COMPUTE_PGM_RSRC2:SCRATCH_EN: 0
; COMPUTE_PGM_RSRC2:USER_SGPR: 2
; COMPUTE_PGM_RSRC2:TRAP_HANDLER: 0
; COMPUTE_PGM_RSRC2:TGID_X_EN: 1
; COMPUTE_PGM_RSRC2:TGID_Y_EN: 0
; COMPUTE_PGM_RSRC2:TGID_Z_EN: 0
; COMPUTE_PGM_RSRC2:TIDIG_COMP_CNT: 0
	.section	.text._ZN9rocsparseL25kernel_set_permuted_arrayILj1024EfiEEvT1_PT0_PKS2_PKS1_,"axG",@progbits,_ZN9rocsparseL25kernel_set_permuted_arrayILj1024EfiEEvT1_PT0_PKS2_PKS1_,comdat
	.globl	_ZN9rocsparseL25kernel_set_permuted_arrayILj1024EfiEEvT1_PT0_PKS2_PKS1_ ; -- Begin function _ZN9rocsparseL25kernel_set_permuted_arrayILj1024EfiEEvT1_PT0_PKS2_PKS1_
	.p2align	8
	.type	_ZN9rocsparseL25kernel_set_permuted_arrayILj1024EfiEEvT1_PT0_PKS2_PKS1_,@function
_ZN9rocsparseL25kernel_set_permuted_arrayILj1024EfiEEvT1_PT0_PKS2_PKS1_: ; @_ZN9rocsparseL25kernel_set_permuted_arrayILj1024EfiEEvT1_PT0_PKS2_PKS1_
; %bb.0:
	s_clause 0x1
	s_load_b32 s2, s[0:1], 0x2c
	s_load_b32 s3, s[0:1], 0x0
	s_bfe_u32 s4, ttmp6, 0x4000c
	s_and_b32 s5, ttmp6, 15
	s_add_co_i32 s4, s4, 1
	s_getreg_b32 s6, hwreg(HW_REG_IB_STS2, 6, 4)
	s_mul_i32 s4, ttmp9, s4
	s_delay_alu instid0(SALU_CYCLE_1) | instskip(SKIP_4) | instid1(SALU_CYCLE_1)
	s_add_co_i32 s5, s5, s4
	s_wait_kmcnt 0x0
	s_and_b32 s2, s2, 0xffff
	s_cmp_eq_u32 s6, 0
	s_cselect_b32 s4, ttmp9, s5
	v_mad_u32 v0, s4, s2, v0
	s_mov_b32 s2, exec_lo
	s_delay_alu instid0(VALU_DEP_1)
	v_cmpx_gt_i32_e64 s3, v0
	s_cbranch_execz .LBB5_2
; %bb.1:
	s_clause 0x1
	s_load_b128 s[4:7], s[0:1], 0x8
	s_load_b64 s[2:3], s[0:1], 0x18
	s_wait_kmcnt 0x0
	s_clause 0x1
	global_load_b32 v1, v0, s[6:7] scale_offset
	global_load_b32 v2, v0, s[2:3] scale_offset
	s_wait_loadcnt 0x0
	global_store_b32 v2, v1, s[4:5] scale_offset
.LBB5_2:
	s_endpgm
	.section	.rodata,"a",@progbits
	.p2align	6, 0x0
	.amdhsa_kernel _ZN9rocsparseL25kernel_set_permuted_arrayILj1024EfiEEvT1_PT0_PKS2_PKS1_
		.amdhsa_group_segment_fixed_size 0
		.amdhsa_private_segment_fixed_size 0
		.amdhsa_kernarg_size 288
		.amdhsa_user_sgpr_count 2
		.amdhsa_user_sgpr_dispatch_ptr 0
		.amdhsa_user_sgpr_queue_ptr 0
		.amdhsa_user_sgpr_kernarg_segment_ptr 1
		.amdhsa_user_sgpr_dispatch_id 0
		.amdhsa_user_sgpr_kernarg_preload_length 0
		.amdhsa_user_sgpr_kernarg_preload_offset 0
		.amdhsa_user_sgpr_private_segment_size 0
		.amdhsa_wavefront_size32 1
		.amdhsa_uses_dynamic_stack 0
		.amdhsa_enable_private_segment 0
		.amdhsa_system_sgpr_workgroup_id_x 1
		.amdhsa_system_sgpr_workgroup_id_y 0
		.amdhsa_system_sgpr_workgroup_id_z 0
		.amdhsa_system_sgpr_workgroup_info 0
		.amdhsa_system_vgpr_workitem_id 0
		.amdhsa_next_free_vgpr 3
		.amdhsa_next_free_sgpr 8
		.amdhsa_named_barrier_count 0
		.amdhsa_reserve_vcc 0
		.amdhsa_float_round_mode_32 0
		.amdhsa_float_round_mode_16_64 0
		.amdhsa_float_denorm_mode_32 3
		.amdhsa_float_denorm_mode_16_64 3
		.amdhsa_fp16_overflow 0
		.amdhsa_memory_ordered 1
		.amdhsa_forward_progress 1
		.amdhsa_inst_pref_size 2
		.amdhsa_round_robin_scheduling 0
		.amdhsa_exception_fp_ieee_invalid_op 0
		.amdhsa_exception_fp_denorm_src 0
		.amdhsa_exception_fp_ieee_div_zero 0
		.amdhsa_exception_fp_ieee_overflow 0
		.amdhsa_exception_fp_ieee_underflow 0
		.amdhsa_exception_fp_ieee_inexact 0
		.amdhsa_exception_int_div_zero 0
	.end_amdhsa_kernel
	.section	.text._ZN9rocsparseL25kernel_set_permuted_arrayILj1024EfiEEvT1_PT0_PKS2_PKS1_,"axG",@progbits,_ZN9rocsparseL25kernel_set_permuted_arrayILj1024EfiEEvT1_PT0_PKS2_PKS1_,comdat
.Lfunc_end5:
	.size	_ZN9rocsparseL25kernel_set_permuted_arrayILj1024EfiEEvT1_PT0_PKS2_PKS1_, .Lfunc_end5-_ZN9rocsparseL25kernel_set_permuted_arrayILj1024EfiEEvT1_PT0_PKS2_PKS1_
                                        ; -- End function
	.set _ZN9rocsparseL25kernel_set_permuted_arrayILj1024EfiEEvT1_PT0_PKS2_PKS1_.num_vgpr, 3
	.set _ZN9rocsparseL25kernel_set_permuted_arrayILj1024EfiEEvT1_PT0_PKS2_PKS1_.num_agpr, 0
	.set _ZN9rocsparseL25kernel_set_permuted_arrayILj1024EfiEEvT1_PT0_PKS2_PKS1_.numbered_sgpr, 8
	.set _ZN9rocsparseL25kernel_set_permuted_arrayILj1024EfiEEvT1_PT0_PKS2_PKS1_.num_named_barrier, 0
	.set _ZN9rocsparseL25kernel_set_permuted_arrayILj1024EfiEEvT1_PT0_PKS2_PKS1_.private_seg_size, 0
	.set _ZN9rocsparseL25kernel_set_permuted_arrayILj1024EfiEEvT1_PT0_PKS2_PKS1_.uses_vcc, 0
	.set _ZN9rocsparseL25kernel_set_permuted_arrayILj1024EfiEEvT1_PT0_PKS2_PKS1_.uses_flat_scratch, 0
	.set _ZN9rocsparseL25kernel_set_permuted_arrayILj1024EfiEEvT1_PT0_PKS2_PKS1_.has_dyn_sized_stack, 0
	.set _ZN9rocsparseL25kernel_set_permuted_arrayILj1024EfiEEvT1_PT0_PKS2_PKS1_.has_recursion, 0
	.set _ZN9rocsparseL25kernel_set_permuted_arrayILj1024EfiEEvT1_PT0_PKS2_PKS1_.has_indirect_call, 0
	.section	.AMDGPU.csdata,"",@progbits
; Kernel info:
; codeLenInByte = 172
; TotalNumSgprs: 8
; NumVgprs: 3
; ScratchSize: 0
; MemoryBound: 0
; FloatMode: 240
; IeeeMode: 1
; LDSByteSize: 0 bytes/workgroup (compile time only)
; SGPRBlocks: 0
; VGPRBlocks: 0
; NumSGPRsForWavesPerEU: 8
; NumVGPRsForWavesPerEU: 3
; NamedBarCnt: 0
; Occupancy: 16
; WaveLimiterHint : 1
; COMPUTE_PGM_RSRC2:SCRATCH_EN: 0
; COMPUTE_PGM_RSRC2:USER_SGPR: 2
; COMPUTE_PGM_RSRC2:TRAP_HANDLER: 0
; COMPUTE_PGM_RSRC2:TGID_X_EN: 1
; COMPUTE_PGM_RSRC2:TGID_Y_EN: 0
; COMPUTE_PGM_RSRC2:TGID_Z_EN: 0
; COMPUTE_PGM_RSRC2:TIDIG_COMP_CNT: 0
	.section	.text._ZN9rocsparseL25kernel_set_identity_arrayILj1024EdiEEvT1_PT0_,"axG",@progbits,_ZN9rocsparseL25kernel_set_identity_arrayILj1024EdiEEvT1_PT0_,comdat
	.globl	_ZN9rocsparseL25kernel_set_identity_arrayILj1024EdiEEvT1_PT0_ ; -- Begin function _ZN9rocsparseL25kernel_set_identity_arrayILj1024EdiEEvT1_PT0_
	.p2align	8
	.type	_ZN9rocsparseL25kernel_set_identity_arrayILj1024EdiEEvT1_PT0_,@function
_ZN9rocsparseL25kernel_set_identity_arrayILj1024EdiEEvT1_PT0_: ; @_ZN9rocsparseL25kernel_set_identity_arrayILj1024EdiEEvT1_PT0_
; %bb.0:
	s_clause 0x1
	s_load_b32 s2, s[0:1], 0x1c
	s_load_b32 s3, s[0:1], 0x0
	s_bfe_u32 s4, ttmp6, 0x4000c
	s_and_b32 s5, ttmp6, 15
	s_add_co_i32 s4, s4, 1
	s_getreg_b32 s6, hwreg(HW_REG_IB_STS2, 6, 4)
	s_mul_i32 s4, ttmp9, s4
	s_delay_alu instid0(SALU_CYCLE_1) | instskip(SKIP_4) | instid1(SALU_CYCLE_1)
	s_add_co_i32 s5, s5, s4
	s_wait_kmcnt 0x0
	s_and_b32 s2, s2, 0xffff
	s_cmp_eq_u32 s6, 0
	s_cselect_b32 s4, ttmp9, s5
	v_mad_u32 v0, s4, s2, v0
	s_mov_b32 s2, exec_lo
	s_delay_alu instid0(VALU_DEP_1)
	v_cmpx_gt_i32_e64 s3, v0
	s_cbranch_execz .LBB6_2
; %bb.1:
	s_load_b64 s[0:1], s[0:1], 0x8
	v_mov_b64_e32 v[2:3], 1.0
	s_wait_kmcnt 0x0
	global_store_b64 v0, v[2:3], s[0:1] scale_offset
.LBB6_2:
	s_endpgm
	.section	.rodata,"a",@progbits
	.p2align	6, 0x0
	.amdhsa_kernel _ZN9rocsparseL25kernel_set_identity_arrayILj1024EdiEEvT1_PT0_
		.amdhsa_group_segment_fixed_size 0
		.amdhsa_private_segment_fixed_size 0
		.amdhsa_kernarg_size 272
		.amdhsa_user_sgpr_count 2
		.amdhsa_user_sgpr_dispatch_ptr 0
		.amdhsa_user_sgpr_queue_ptr 0
		.amdhsa_user_sgpr_kernarg_segment_ptr 1
		.amdhsa_user_sgpr_dispatch_id 0
		.amdhsa_user_sgpr_kernarg_preload_length 0
		.amdhsa_user_sgpr_kernarg_preload_offset 0
		.amdhsa_user_sgpr_private_segment_size 0
		.amdhsa_wavefront_size32 1
		.amdhsa_uses_dynamic_stack 0
		.amdhsa_enable_private_segment 0
		.amdhsa_system_sgpr_workgroup_id_x 1
		.amdhsa_system_sgpr_workgroup_id_y 0
		.amdhsa_system_sgpr_workgroup_id_z 0
		.amdhsa_system_sgpr_workgroup_info 0
		.amdhsa_system_vgpr_workitem_id 0
		.amdhsa_next_free_vgpr 4
		.amdhsa_next_free_sgpr 7
		.amdhsa_named_barrier_count 0
		.amdhsa_reserve_vcc 0
		.amdhsa_float_round_mode_32 0
		.amdhsa_float_round_mode_16_64 0
		.amdhsa_float_denorm_mode_32 3
		.amdhsa_float_denorm_mode_16_64 3
		.amdhsa_fp16_overflow 0
		.amdhsa_memory_ordered 1
		.amdhsa_forward_progress 1
		.amdhsa_inst_pref_size 2
		.amdhsa_round_robin_scheduling 0
		.amdhsa_exception_fp_ieee_invalid_op 0
		.amdhsa_exception_fp_denorm_src 0
		.amdhsa_exception_fp_ieee_div_zero 0
		.amdhsa_exception_fp_ieee_overflow 0
		.amdhsa_exception_fp_ieee_underflow 0
		.amdhsa_exception_fp_ieee_inexact 0
		.amdhsa_exception_int_div_zero 0
	.end_amdhsa_kernel
	.section	.text._ZN9rocsparseL25kernel_set_identity_arrayILj1024EdiEEvT1_PT0_,"axG",@progbits,_ZN9rocsparseL25kernel_set_identity_arrayILj1024EdiEEvT1_PT0_,comdat
.Lfunc_end6:
	.size	_ZN9rocsparseL25kernel_set_identity_arrayILj1024EdiEEvT1_PT0_, .Lfunc_end6-_ZN9rocsparseL25kernel_set_identity_arrayILj1024EdiEEvT1_PT0_
                                        ; -- End function
	.set _ZN9rocsparseL25kernel_set_identity_arrayILj1024EdiEEvT1_PT0_.num_vgpr, 4
	.set _ZN9rocsparseL25kernel_set_identity_arrayILj1024EdiEEvT1_PT0_.num_agpr, 0
	.set _ZN9rocsparseL25kernel_set_identity_arrayILj1024EdiEEvT1_PT0_.numbered_sgpr, 7
	.set _ZN9rocsparseL25kernel_set_identity_arrayILj1024EdiEEvT1_PT0_.num_named_barrier, 0
	.set _ZN9rocsparseL25kernel_set_identity_arrayILj1024EdiEEvT1_PT0_.private_seg_size, 0
	.set _ZN9rocsparseL25kernel_set_identity_arrayILj1024EdiEEvT1_PT0_.uses_vcc, 0
	.set _ZN9rocsparseL25kernel_set_identity_arrayILj1024EdiEEvT1_PT0_.uses_flat_scratch, 0
	.set _ZN9rocsparseL25kernel_set_identity_arrayILj1024EdiEEvT1_PT0_.has_dyn_sized_stack, 0
	.set _ZN9rocsparseL25kernel_set_identity_arrayILj1024EdiEEvT1_PT0_.has_recursion, 0
	.set _ZN9rocsparseL25kernel_set_identity_arrayILj1024EdiEEvT1_PT0_.has_indirect_call, 0
	.section	.AMDGPU.csdata,"",@progbits
; Kernel info:
; codeLenInByte = 132
; TotalNumSgprs: 7
; NumVgprs: 4
; ScratchSize: 0
; MemoryBound: 0
; FloatMode: 240
; IeeeMode: 1
; LDSByteSize: 0 bytes/workgroup (compile time only)
; SGPRBlocks: 0
; VGPRBlocks: 0
; NumSGPRsForWavesPerEU: 7
; NumVGPRsForWavesPerEU: 4
; NamedBarCnt: 0
; Occupancy: 16
; WaveLimiterHint : 0
; COMPUTE_PGM_RSRC2:SCRATCH_EN: 0
; COMPUTE_PGM_RSRC2:USER_SGPR: 2
; COMPUTE_PGM_RSRC2:TRAP_HANDLER: 0
; COMPUTE_PGM_RSRC2:TGID_X_EN: 1
; COMPUTE_PGM_RSRC2:TGID_Y_EN: 0
; COMPUTE_PGM_RSRC2:TGID_Z_EN: 0
; COMPUTE_PGM_RSRC2:TIDIG_COMP_CNT: 0
	.section	.text._ZN9rocsparseL25kernel_get_permuted_arrayILj1024EdiEEvT1_PKT0_PS2_PKS1_,"axG",@progbits,_ZN9rocsparseL25kernel_get_permuted_arrayILj1024EdiEEvT1_PKT0_PS2_PKS1_,comdat
	.globl	_ZN9rocsparseL25kernel_get_permuted_arrayILj1024EdiEEvT1_PKT0_PS2_PKS1_ ; -- Begin function _ZN9rocsparseL25kernel_get_permuted_arrayILj1024EdiEEvT1_PKT0_PS2_PKS1_
	.p2align	8
	.type	_ZN9rocsparseL25kernel_get_permuted_arrayILj1024EdiEEvT1_PKT0_PS2_PKS1_,@function
_ZN9rocsparseL25kernel_get_permuted_arrayILj1024EdiEEvT1_PKT0_PS2_PKS1_: ; @_ZN9rocsparseL25kernel_get_permuted_arrayILj1024EdiEEvT1_PKT0_PS2_PKS1_
; %bb.0:
	s_clause 0x1
	s_load_b32 s2, s[0:1], 0x2c
	s_load_b32 s3, s[0:1], 0x0
	s_bfe_u32 s4, ttmp6, 0x4000c
	s_and_b32 s5, ttmp6, 15
	s_add_co_i32 s4, s4, 1
	s_getreg_b32 s6, hwreg(HW_REG_IB_STS2, 6, 4)
	s_mul_i32 s4, ttmp9, s4
	s_delay_alu instid0(SALU_CYCLE_1) | instskip(SKIP_4) | instid1(SALU_CYCLE_1)
	s_add_co_i32 s5, s5, s4
	s_wait_kmcnt 0x0
	s_and_b32 s2, s2, 0xffff
	s_cmp_eq_u32 s6, 0
	s_cselect_b32 s4, ttmp9, s5
	v_mad_u32 v0, s4, s2, v0
	s_mov_b32 s2, exec_lo
	s_delay_alu instid0(VALU_DEP_1)
	v_cmpx_gt_i32_e64 s3, v0
	s_cbranch_execz .LBB7_2
; %bb.1:
	s_clause 0x1
	s_load_b64 s[2:3], s[0:1], 0x18
	s_load_b128 s[4:7], s[0:1], 0x8
	s_wait_kmcnt 0x0
	global_load_b32 v1, v0, s[2:3] scale_offset
	s_wait_loadcnt 0x0
	global_load_b64 v[2:3], v1, s[4:5] scale_offset
	s_wait_loadcnt 0x0
	global_store_b64 v0, v[2:3], s[6:7] scale_offset
.LBB7_2:
	s_endpgm
	.section	.rodata,"a",@progbits
	.p2align	6, 0x0
	.amdhsa_kernel _ZN9rocsparseL25kernel_get_permuted_arrayILj1024EdiEEvT1_PKT0_PS2_PKS1_
		.amdhsa_group_segment_fixed_size 0
		.amdhsa_private_segment_fixed_size 0
		.amdhsa_kernarg_size 288
		.amdhsa_user_sgpr_count 2
		.amdhsa_user_sgpr_dispatch_ptr 0
		.amdhsa_user_sgpr_queue_ptr 0
		.amdhsa_user_sgpr_kernarg_segment_ptr 1
		.amdhsa_user_sgpr_dispatch_id 0
		.amdhsa_user_sgpr_kernarg_preload_length 0
		.amdhsa_user_sgpr_kernarg_preload_offset 0
		.amdhsa_user_sgpr_private_segment_size 0
		.amdhsa_wavefront_size32 1
		.amdhsa_uses_dynamic_stack 0
		.amdhsa_enable_private_segment 0
		.amdhsa_system_sgpr_workgroup_id_x 1
		.amdhsa_system_sgpr_workgroup_id_y 0
		.amdhsa_system_sgpr_workgroup_id_z 0
		.amdhsa_system_sgpr_workgroup_info 0
		.amdhsa_system_vgpr_workitem_id 0
		.amdhsa_next_free_vgpr 4
		.amdhsa_next_free_sgpr 8
		.amdhsa_named_barrier_count 0
		.amdhsa_reserve_vcc 0
		.amdhsa_float_round_mode_32 0
		.amdhsa_float_round_mode_16_64 0
		.amdhsa_float_denorm_mode_32 3
		.amdhsa_float_denorm_mode_16_64 3
		.amdhsa_fp16_overflow 0
		.amdhsa_memory_ordered 1
		.amdhsa_forward_progress 1
		.amdhsa_inst_pref_size 2
		.amdhsa_round_robin_scheduling 0
		.amdhsa_exception_fp_ieee_invalid_op 0
		.amdhsa_exception_fp_denorm_src 0
		.amdhsa_exception_fp_ieee_div_zero 0
		.amdhsa_exception_fp_ieee_overflow 0
		.amdhsa_exception_fp_ieee_underflow 0
		.amdhsa_exception_fp_ieee_inexact 0
		.amdhsa_exception_int_div_zero 0
	.end_amdhsa_kernel
	.section	.text._ZN9rocsparseL25kernel_get_permuted_arrayILj1024EdiEEvT1_PKT0_PS2_PKS1_,"axG",@progbits,_ZN9rocsparseL25kernel_get_permuted_arrayILj1024EdiEEvT1_PKT0_PS2_PKS1_,comdat
.Lfunc_end7:
	.size	_ZN9rocsparseL25kernel_get_permuted_arrayILj1024EdiEEvT1_PKT0_PS2_PKS1_, .Lfunc_end7-_ZN9rocsparseL25kernel_get_permuted_arrayILj1024EdiEEvT1_PKT0_PS2_PKS1_
                                        ; -- End function
	.set _ZN9rocsparseL25kernel_get_permuted_arrayILj1024EdiEEvT1_PKT0_PS2_PKS1_.num_vgpr, 4
	.set _ZN9rocsparseL25kernel_get_permuted_arrayILj1024EdiEEvT1_PKT0_PS2_PKS1_.num_agpr, 0
	.set _ZN9rocsparseL25kernel_get_permuted_arrayILj1024EdiEEvT1_PKT0_PS2_PKS1_.numbered_sgpr, 8
	.set _ZN9rocsparseL25kernel_get_permuted_arrayILj1024EdiEEvT1_PKT0_PS2_PKS1_.num_named_barrier, 0
	.set _ZN9rocsparseL25kernel_get_permuted_arrayILj1024EdiEEvT1_PKT0_PS2_PKS1_.private_seg_size, 0
	.set _ZN9rocsparseL25kernel_get_permuted_arrayILj1024EdiEEvT1_PKT0_PS2_PKS1_.uses_vcc, 0
	.set _ZN9rocsparseL25kernel_get_permuted_arrayILj1024EdiEEvT1_PKT0_PS2_PKS1_.uses_flat_scratch, 0
	.set _ZN9rocsparseL25kernel_get_permuted_arrayILj1024EdiEEvT1_PKT0_PS2_PKS1_.has_dyn_sized_stack, 0
	.set _ZN9rocsparseL25kernel_get_permuted_arrayILj1024EdiEEvT1_PKT0_PS2_PKS1_.has_recursion, 0
	.set _ZN9rocsparseL25kernel_get_permuted_arrayILj1024EdiEEvT1_PKT0_PS2_PKS1_.has_indirect_call, 0
	.section	.AMDGPU.csdata,"",@progbits
; Kernel info:
; codeLenInByte = 172
; TotalNumSgprs: 8
; NumVgprs: 4
; ScratchSize: 0
; MemoryBound: 0
; FloatMode: 240
; IeeeMode: 1
; LDSByteSize: 0 bytes/workgroup (compile time only)
; SGPRBlocks: 0
; VGPRBlocks: 0
; NumSGPRsForWavesPerEU: 8
; NumVGPRsForWavesPerEU: 4
; NamedBarCnt: 0
; Occupancy: 16
; WaveLimiterHint : 1
; COMPUTE_PGM_RSRC2:SCRATCH_EN: 0
; COMPUTE_PGM_RSRC2:USER_SGPR: 2
; COMPUTE_PGM_RSRC2:TRAP_HANDLER: 0
; COMPUTE_PGM_RSRC2:TGID_X_EN: 1
; COMPUTE_PGM_RSRC2:TGID_Y_EN: 0
; COMPUTE_PGM_RSRC2:TGID_Z_EN: 0
; COMPUTE_PGM_RSRC2:TIDIG_COMP_CNT: 0
	.section	.text._ZN9rocsparseL25kernel_set_permuted_arrayILj1024EdiEEvT1_PT0_PKS2_PKS1_,"axG",@progbits,_ZN9rocsparseL25kernel_set_permuted_arrayILj1024EdiEEvT1_PT0_PKS2_PKS1_,comdat
	.globl	_ZN9rocsparseL25kernel_set_permuted_arrayILj1024EdiEEvT1_PT0_PKS2_PKS1_ ; -- Begin function _ZN9rocsparseL25kernel_set_permuted_arrayILj1024EdiEEvT1_PT0_PKS2_PKS1_
	.p2align	8
	.type	_ZN9rocsparseL25kernel_set_permuted_arrayILj1024EdiEEvT1_PT0_PKS2_PKS1_,@function
_ZN9rocsparseL25kernel_set_permuted_arrayILj1024EdiEEvT1_PT0_PKS2_PKS1_: ; @_ZN9rocsparseL25kernel_set_permuted_arrayILj1024EdiEEvT1_PT0_PKS2_PKS1_
; %bb.0:
	s_clause 0x1
	s_load_b32 s2, s[0:1], 0x2c
	s_load_b32 s3, s[0:1], 0x0
	s_bfe_u32 s4, ttmp6, 0x4000c
	s_and_b32 s5, ttmp6, 15
	s_add_co_i32 s4, s4, 1
	s_getreg_b32 s6, hwreg(HW_REG_IB_STS2, 6, 4)
	s_mul_i32 s4, ttmp9, s4
	s_delay_alu instid0(SALU_CYCLE_1) | instskip(SKIP_4) | instid1(SALU_CYCLE_1)
	s_add_co_i32 s5, s5, s4
	s_wait_kmcnt 0x0
	s_and_b32 s2, s2, 0xffff
	s_cmp_eq_u32 s6, 0
	s_cselect_b32 s4, ttmp9, s5
	v_mad_u32 v0, s4, s2, v0
	s_mov_b32 s2, exec_lo
	s_delay_alu instid0(VALU_DEP_1)
	v_cmpx_gt_i32_e64 s3, v0
	s_cbranch_execz .LBB8_2
; %bb.1:
	s_clause 0x1
	s_load_b128 s[4:7], s[0:1], 0x8
	s_load_b64 s[2:3], s[0:1], 0x18
	s_wait_kmcnt 0x0
	s_clause 0x1
	global_load_b64 v[2:3], v0, s[6:7] scale_offset
	global_load_b32 v1, v0, s[2:3] scale_offset
	s_wait_loadcnt 0x0
	global_store_b64 v1, v[2:3], s[4:5] scale_offset
.LBB8_2:
	s_endpgm
	.section	.rodata,"a",@progbits
	.p2align	6, 0x0
	.amdhsa_kernel _ZN9rocsparseL25kernel_set_permuted_arrayILj1024EdiEEvT1_PT0_PKS2_PKS1_
		.amdhsa_group_segment_fixed_size 0
		.amdhsa_private_segment_fixed_size 0
		.amdhsa_kernarg_size 288
		.amdhsa_user_sgpr_count 2
		.amdhsa_user_sgpr_dispatch_ptr 0
		.amdhsa_user_sgpr_queue_ptr 0
		.amdhsa_user_sgpr_kernarg_segment_ptr 1
		.amdhsa_user_sgpr_dispatch_id 0
		.amdhsa_user_sgpr_kernarg_preload_length 0
		.amdhsa_user_sgpr_kernarg_preload_offset 0
		.amdhsa_user_sgpr_private_segment_size 0
		.amdhsa_wavefront_size32 1
		.amdhsa_uses_dynamic_stack 0
		.amdhsa_enable_private_segment 0
		.amdhsa_system_sgpr_workgroup_id_x 1
		.amdhsa_system_sgpr_workgroup_id_y 0
		.amdhsa_system_sgpr_workgroup_id_z 0
		.amdhsa_system_sgpr_workgroup_info 0
		.amdhsa_system_vgpr_workitem_id 0
		.amdhsa_next_free_vgpr 4
		.amdhsa_next_free_sgpr 8
		.amdhsa_named_barrier_count 0
		.amdhsa_reserve_vcc 0
		.amdhsa_float_round_mode_32 0
		.amdhsa_float_round_mode_16_64 0
		.amdhsa_float_denorm_mode_32 3
		.amdhsa_float_denorm_mode_16_64 3
		.amdhsa_fp16_overflow 0
		.amdhsa_memory_ordered 1
		.amdhsa_forward_progress 1
		.amdhsa_inst_pref_size 2
		.amdhsa_round_robin_scheduling 0
		.amdhsa_exception_fp_ieee_invalid_op 0
		.amdhsa_exception_fp_denorm_src 0
		.amdhsa_exception_fp_ieee_div_zero 0
		.amdhsa_exception_fp_ieee_overflow 0
		.amdhsa_exception_fp_ieee_underflow 0
		.amdhsa_exception_fp_ieee_inexact 0
		.amdhsa_exception_int_div_zero 0
	.end_amdhsa_kernel
	.section	.text._ZN9rocsparseL25kernel_set_permuted_arrayILj1024EdiEEvT1_PT0_PKS2_PKS1_,"axG",@progbits,_ZN9rocsparseL25kernel_set_permuted_arrayILj1024EdiEEvT1_PT0_PKS2_PKS1_,comdat
.Lfunc_end8:
	.size	_ZN9rocsparseL25kernel_set_permuted_arrayILj1024EdiEEvT1_PT0_PKS2_PKS1_, .Lfunc_end8-_ZN9rocsparseL25kernel_set_permuted_arrayILj1024EdiEEvT1_PT0_PKS2_PKS1_
                                        ; -- End function
	.set _ZN9rocsparseL25kernel_set_permuted_arrayILj1024EdiEEvT1_PT0_PKS2_PKS1_.num_vgpr, 4
	.set _ZN9rocsparseL25kernel_set_permuted_arrayILj1024EdiEEvT1_PT0_PKS2_PKS1_.num_agpr, 0
	.set _ZN9rocsparseL25kernel_set_permuted_arrayILj1024EdiEEvT1_PT0_PKS2_PKS1_.numbered_sgpr, 8
	.set _ZN9rocsparseL25kernel_set_permuted_arrayILj1024EdiEEvT1_PT0_PKS2_PKS1_.num_named_barrier, 0
	.set _ZN9rocsparseL25kernel_set_permuted_arrayILj1024EdiEEvT1_PT0_PKS2_PKS1_.private_seg_size, 0
	.set _ZN9rocsparseL25kernel_set_permuted_arrayILj1024EdiEEvT1_PT0_PKS2_PKS1_.uses_vcc, 0
	.set _ZN9rocsparseL25kernel_set_permuted_arrayILj1024EdiEEvT1_PT0_PKS2_PKS1_.uses_flat_scratch, 0
	.set _ZN9rocsparseL25kernel_set_permuted_arrayILj1024EdiEEvT1_PT0_PKS2_PKS1_.has_dyn_sized_stack, 0
	.set _ZN9rocsparseL25kernel_set_permuted_arrayILj1024EdiEEvT1_PT0_PKS2_PKS1_.has_recursion, 0
	.set _ZN9rocsparseL25kernel_set_permuted_arrayILj1024EdiEEvT1_PT0_PKS2_PKS1_.has_indirect_call, 0
	.section	.AMDGPU.csdata,"",@progbits
; Kernel info:
; codeLenInByte = 172
; TotalNumSgprs: 8
; NumVgprs: 4
; ScratchSize: 0
; MemoryBound: 0
; FloatMode: 240
; IeeeMode: 1
; LDSByteSize: 0 bytes/workgroup (compile time only)
; SGPRBlocks: 0
; VGPRBlocks: 0
; NumSGPRsForWavesPerEU: 8
; NumVGPRsForWavesPerEU: 4
; NamedBarCnt: 0
; Occupancy: 16
; WaveLimiterHint : 1
; COMPUTE_PGM_RSRC2:SCRATCH_EN: 0
; COMPUTE_PGM_RSRC2:USER_SGPR: 2
; COMPUTE_PGM_RSRC2:TRAP_HANDLER: 0
; COMPUTE_PGM_RSRC2:TGID_X_EN: 1
; COMPUTE_PGM_RSRC2:TGID_Y_EN: 0
; COMPUTE_PGM_RSRC2:TGID_Z_EN: 0
; COMPUTE_PGM_RSRC2:TIDIG_COMP_CNT: 0
	.section	.text._ZN9rocsparseL25kernel_set_identity_arrayILj1024E21rocsparse_complex_numIfEiEEvT1_PT0_,"axG",@progbits,_ZN9rocsparseL25kernel_set_identity_arrayILj1024E21rocsparse_complex_numIfEiEEvT1_PT0_,comdat
	.globl	_ZN9rocsparseL25kernel_set_identity_arrayILj1024E21rocsparse_complex_numIfEiEEvT1_PT0_ ; -- Begin function _ZN9rocsparseL25kernel_set_identity_arrayILj1024E21rocsparse_complex_numIfEiEEvT1_PT0_
	.p2align	8
	.type	_ZN9rocsparseL25kernel_set_identity_arrayILj1024E21rocsparse_complex_numIfEiEEvT1_PT0_,@function
_ZN9rocsparseL25kernel_set_identity_arrayILj1024E21rocsparse_complex_numIfEiEEvT1_PT0_: ; @_ZN9rocsparseL25kernel_set_identity_arrayILj1024E21rocsparse_complex_numIfEiEEvT1_PT0_
; %bb.0:
	s_clause 0x1
	s_load_b32 s2, s[0:1], 0x1c
	s_load_b32 s3, s[0:1], 0x0
	s_bfe_u32 s4, ttmp6, 0x4000c
	s_and_b32 s5, ttmp6, 15
	s_add_co_i32 s4, s4, 1
	s_getreg_b32 s6, hwreg(HW_REG_IB_STS2, 6, 4)
	s_mul_i32 s4, ttmp9, s4
	s_delay_alu instid0(SALU_CYCLE_1) | instskip(SKIP_4) | instid1(SALU_CYCLE_1)
	s_add_co_i32 s5, s5, s4
	s_wait_kmcnt 0x0
	s_and_b32 s2, s2, 0xffff
	s_cmp_eq_u32 s6, 0
	s_cselect_b32 s4, ttmp9, s5
	v_mad_u32 v0, s4, s2, v0
	s_mov_b32 s2, exec_lo
	s_delay_alu instid0(VALU_DEP_1)
	v_cmpx_gt_i32_e64 s3, v0
	s_cbranch_execz .LBB9_2
; %bb.1:
	s_load_b64 s[0:1], s[0:1], 0x8
	v_mov_b64_e32 v[2:3], 0x3f800000
	s_wait_kmcnt 0x0
	global_store_b64 v0, v[2:3], s[0:1] scale_offset
.LBB9_2:
	s_endpgm
	.section	.rodata,"a",@progbits
	.p2align	6, 0x0
	.amdhsa_kernel _ZN9rocsparseL25kernel_set_identity_arrayILj1024E21rocsparse_complex_numIfEiEEvT1_PT0_
		.amdhsa_group_segment_fixed_size 0
		.amdhsa_private_segment_fixed_size 0
		.amdhsa_kernarg_size 272
		.amdhsa_user_sgpr_count 2
		.amdhsa_user_sgpr_dispatch_ptr 0
		.amdhsa_user_sgpr_queue_ptr 0
		.amdhsa_user_sgpr_kernarg_segment_ptr 1
		.amdhsa_user_sgpr_dispatch_id 0
		.amdhsa_user_sgpr_kernarg_preload_length 0
		.amdhsa_user_sgpr_kernarg_preload_offset 0
		.amdhsa_user_sgpr_private_segment_size 0
		.amdhsa_wavefront_size32 1
		.amdhsa_uses_dynamic_stack 0
		.amdhsa_enable_private_segment 0
		.amdhsa_system_sgpr_workgroup_id_x 1
		.amdhsa_system_sgpr_workgroup_id_y 0
		.amdhsa_system_sgpr_workgroup_id_z 0
		.amdhsa_system_sgpr_workgroup_info 0
		.amdhsa_system_vgpr_workitem_id 0
		.amdhsa_next_free_vgpr 4
		.amdhsa_next_free_sgpr 7
		.amdhsa_named_barrier_count 0
		.amdhsa_reserve_vcc 0
		.amdhsa_float_round_mode_32 0
		.amdhsa_float_round_mode_16_64 0
		.amdhsa_float_denorm_mode_32 3
		.amdhsa_float_denorm_mode_16_64 3
		.amdhsa_fp16_overflow 0
		.amdhsa_memory_ordered 1
		.amdhsa_forward_progress 1
		.amdhsa_inst_pref_size 2
		.amdhsa_round_robin_scheduling 0
		.amdhsa_exception_fp_ieee_invalid_op 0
		.amdhsa_exception_fp_denorm_src 0
		.amdhsa_exception_fp_ieee_div_zero 0
		.amdhsa_exception_fp_ieee_overflow 0
		.amdhsa_exception_fp_ieee_underflow 0
		.amdhsa_exception_fp_ieee_inexact 0
		.amdhsa_exception_int_div_zero 0
	.end_amdhsa_kernel
	.section	.text._ZN9rocsparseL25kernel_set_identity_arrayILj1024E21rocsparse_complex_numIfEiEEvT1_PT0_,"axG",@progbits,_ZN9rocsparseL25kernel_set_identity_arrayILj1024E21rocsparse_complex_numIfEiEEvT1_PT0_,comdat
.Lfunc_end9:
	.size	_ZN9rocsparseL25kernel_set_identity_arrayILj1024E21rocsparse_complex_numIfEiEEvT1_PT0_, .Lfunc_end9-_ZN9rocsparseL25kernel_set_identity_arrayILj1024E21rocsparse_complex_numIfEiEEvT1_PT0_
                                        ; -- End function
	.set _ZN9rocsparseL25kernel_set_identity_arrayILj1024E21rocsparse_complex_numIfEiEEvT1_PT0_.num_vgpr, 4
	.set _ZN9rocsparseL25kernel_set_identity_arrayILj1024E21rocsparse_complex_numIfEiEEvT1_PT0_.num_agpr, 0
	.set _ZN9rocsparseL25kernel_set_identity_arrayILj1024E21rocsparse_complex_numIfEiEEvT1_PT0_.numbered_sgpr, 7
	.set _ZN9rocsparseL25kernel_set_identity_arrayILj1024E21rocsparse_complex_numIfEiEEvT1_PT0_.num_named_barrier, 0
	.set _ZN9rocsparseL25kernel_set_identity_arrayILj1024E21rocsparse_complex_numIfEiEEvT1_PT0_.private_seg_size, 0
	.set _ZN9rocsparseL25kernel_set_identity_arrayILj1024E21rocsparse_complex_numIfEiEEvT1_PT0_.uses_vcc, 0
	.set _ZN9rocsparseL25kernel_set_identity_arrayILj1024E21rocsparse_complex_numIfEiEEvT1_PT0_.uses_flat_scratch, 0
	.set _ZN9rocsparseL25kernel_set_identity_arrayILj1024E21rocsparse_complex_numIfEiEEvT1_PT0_.has_dyn_sized_stack, 0
	.set _ZN9rocsparseL25kernel_set_identity_arrayILj1024E21rocsparse_complex_numIfEiEEvT1_PT0_.has_recursion, 0
	.set _ZN9rocsparseL25kernel_set_identity_arrayILj1024E21rocsparse_complex_numIfEiEEvT1_PT0_.has_indirect_call, 0
	.section	.AMDGPU.csdata,"",@progbits
; Kernel info:
; codeLenInByte = 136
; TotalNumSgprs: 7
; NumVgprs: 4
; ScratchSize: 0
; MemoryBound: 0
; FloatMode: 240
; IeeeMode: 1
; LDSByteSize: 0 bytes/workgroup (compile time only)
; SGPRBlocks: 0
; VGPRBlocks: 0
; NumSGPRsForWavesPerEU: 7
; NumVGPRsForWavesPerEU: 4
; NamedBarCnt: 0
; Occupancy: 16
; WaveLimiterHint : 0
; COMPUTE_PGM_RSRC2:SCRATCH_EN: 0
; COMPUTE_PGM_RSRC2:USER_SGPR: 2
; COMPUTE_PGM_RSRC2:TRAP_HANDLER: 0
; COMPUTE_PGM_RSRC2:TGID_X_EN: 1
; COMPUTE_PGM_RSRC2:TGID_Y_EN: 0
; COMPUTE_PGM_RSRC2:TGID_Z_EN: 0
; COMPUTE_PGM_RSRC2:TIDIG_COMP_CNT: 0
	.section	.text._ZN9rocsparseL25kernel_get_permuted_arrayILj1024E21rocsparse_complex_numIfEiEEvT1_PKT0_PS4_PKS3_,"axG",@progbits,_ZN9rocsparseL25kernel_get_permuted_arrayILj1024E21rocsparse_complex_numIfEiEEvT1_PKT0_PS4_PKS3_,comdat
	.globl	_ZN9rocsparseL25kernel_get_permuted_arrayILj1024E21rocsparse_complex_numIfEiEEvT1_PKT0_PS4_PKS3_ ; -- Begin function _ZN9rocsparseL25kernel_get_permuted_arrayILj1024E21rocsparse_complex_numIfEiEEvT1_PKT0_PS4_PKS3_
	.p2align	8
	.type	_ZN9rocsparseL25kernel_get_permuted_arrayILj1024E21rocsparse_complex_numIfEiEEvT1_PKT0_PS4_PKS3_,@function
_ZN9rocsparseL25kernel_get_permuted_arrayILj1024E21rocsparse_complex_numIfEiEEvT1_PKT0_PS4_PKS3_: ; @_ZN9rocsparseL25kernel_get_permuted_arrayILj1024E21rocsparse_complex_numIfEiEEvT1_PKT0_PS4_PKS3_
; %bb.0:
	s_clause 0x1
	s_load_b32 s2, s[0:1], 0x2c
	s_load_b32 s3, s[0:1], 0x0
	s_bfe_u32 s4, ttmp6, 0x4000c
	s_and_b32 s5, ttmp6, 15
	s_add_co_i32 s4, s4, 1
	s_getreg_b32 s6, hwreg(HW_REG_IB_STS2, 6, 4)
	s_mul_i32 s4, ttmp9, s4
	s_delay_alu instid0(SALU_CYCLE_1) | instskip(SKIP_4) | instid1(SALU_CYCLE_1)
	s_add_co_i32 s5, s5, s4
	s_wait_kmcnt 0x0
	s_and_b32 s2, s2, 0xffff
	s_cmp_eq_u32 s6, 0
	s_cselect_b32 s4, ttmp9, s5
	v_mad_u32 v0, s4, s2, v0
	s_mov_b32 s2, exec_lo
	s_delay_alu instid0(VALU_DEP_1)
	v_cmpx_gt_i32_e64 s3, v0
	s_cbranch_execz .LBB10_2
; %bb.1:
	s_clause 0x1
	s_load_b64 s[2:3], s[0:1], 0x18
	s_load_b128 s[4:7], s[0:1], 0x8
	s_wait_kmcnt 0x0
	global_load_b32 v1, v0, s[2:3] scale_offset
	s_wait_loadcnt 0x0
	global_load_b64 v[2:3], v1, s[4:5] scale_offset
	s_wait_loadcnt 0x0
	global_store_b64 v0, v[2:3], s[6:7] scale_offset
.LBB10_2:
	s_endpgm
	.section	.rodata,"a",@progbits
	.p2align	6, 0x0
	.amdhsa_kernel _ZN9rocsparseL25kernel_get_permuted_arrayILj1024E21rocsparse_complex_numIfEiEEvT1_PKT0_PS4_PKS3_
		.amdhsa_group_segment_fixed_size 0
		.amdhsa_private_segment_fixed_size 0
		.amdhsa_kernarg_size 288
		.amdhsa_user_sgpr_count 2
		.amdhsa_user_sgpr_dispatch_ptr 0
		.amdhsa_user_sgpr_queue_ptr 0
		.amdhsa_user_sgpr_kernarg_segment_ptr 1
		.amdhsa_user_sgpr_dispatch_id 0
		.amdhsa_user_sgpr_kernarg_preload_length 0
		.amdhsa_user_sgpr_kernarg_preload_offset 0
		.amdhsa_user_sgpr_private_segment_size 0
		.amdhsa_wavefront_size32 1
		.amdhsa_uses_dynamic_stack 0
		.amdhsa_enable_private_segment 0
		.amdhsa_system_sgpr_workgroup_id_x 1
		.amdhsa_system_sgpr_workgroup_id_y 0
		.amdhsa_system_sgpr_workgroup_id_z 0
		.amdhsa_system_sgpr_workgroup_info 0
		.amdhsa_system_vgpr_workitem_id 0
		.amdhsa_next_free_vgpr 4
		.amdhsa_next_free_sgpr 8
		.amdhsa_named_barrier_count 0
		.amdhsa_reserve_vcc 0
		.amdhsa_float_round_mode_32 0
		.amdhsa_float_round_mode_16_64 0
		.amdhsa_float_denorm_mode_32 3
		.amdhsa_float_denorm_mode_16_64 3
		.amdhsa_fp16_overflow 0
		.amdhsa_memory_ordered 1
		.amdhsa_forward_progress 1
		.amdhsa_inst_pref_size 2
		.amdhsa_round_robin_scheduling 0
		.amdhsa_exception_fp_ieee_invalid_op 0
		.amdhsa_exception_fp_denorm_src 0
		.amdhsa_exception_fp_ieee_div_zero 0
		.amdhsa_exception_fp_ieee_overflow 0
		.amdhsa_exception_fp_ieee_underflow 0
		.amdhsa_exception_fp_ieee_inexact 0
		.amdhsa_exception_int_div_zero 0
	.end_amdhsa_kernel
	.section	.text._ZN9rocsparseL25kernel_get_permuted_arrayILj1024E21rocsparse_complex_numIfEiEEvT1_PKT0_PS4_PKS3_,"axG",@progbits,_ZN9rocsparseL25kernel_get_permuted_arrayILj1024E21rocsparse_complex_numIfEiEEvT1_PKT0_PS4_PKS3_,comdat
.Lfunc_end10:
	.size	_ZN9rocsparseL25kernel_get_permuted_arrayILj1024E21rocsparse_complex_numIfEiEEvT1_PKT0_PS4_PKS3_, .Lfunc_end10-_ZN9rocsparseL25kernel_get_permuted_arrayILj1024E21rocsparse_complex_numIfEiEEvT1_PKT0_PS4_PKS3_
                                        ; -- End function
	.set _ZN9rocsparseL25kernel_get_permuted_arrayILj1024E21rocsparse_complex_numIfEiEEvT1_PKT0_PS4_PKS3_.num_vgpr, 4
	.set _ZN9rocsparseL25kernel_get_permuted_arrayILj1024E21rocsparse_complex_numIfEiEEvT1_PKT0_PS4_PKS3_.num_agpr, 0
	.set _ZN9rocsparseL25kernel_get_permuted_arrayILj1024E21rocsparse_complex_numIfEiEEvT1_PKT0_PS4_PKS3_.numbered_sgpr, 8
	.set _ZN9rocsparseL25kernel_get_permuted_arrayILj1024E21rocsparse_complex_numIfEiEEvT1_PKT0_PS4_PKS3_.num_named_barrier, 0
	.set _ZN9rocsparseL25kernel_get_permuted_arrayILj1024E21rocsparse_complex_numIfEiEEvT1_PKT0_PS4_PKS3_.private_seg_size, 0
	.set _ZN9rocsparseL25kernel_get_permuted_arrayILj1024E21rocsparse_complex_numIfEiEEvT1_PKT0_PS4_PKS3_.uses_vcc, 0
	.set _ZN9rocsparseL25kernel_get_permuted_arrayILj1024E21rocsparse_complex_numIfEiEEvT1_PKT0_PS4_PKS3_.uses_flat_scratch, 0
	.set _ZN9rocsparseL25kernel_get_permuted_arrayILj1024E21rocsparse_complex_numIfEiEEvT1_PKT0_PS4_PKS3_.has_dyn_sized_stack, 0
	.set _ZN9rocsparseL25kernel_get_permuted_arrayILj1024E21rocsparse_complex_numIfEiEEvT1_PKT0_PS4_PKS3_.has_recursion, 0
	.set _ZN9rocsparseL25kernel_get_permuted_arrayILj1024E21rocsparse_complex_numIfEiEEvT1_PKT0_PS4_PKS3_.has_indirect_call, 0
	.section	.AMDGPU.csdata,"",@progbits
; Kernel info:
; codeLenInByte = 172
; TotalNumSgprs: 8
; NumVgprs: 4
; ScratchSize: 0
; MemoryBound: 0
; FloatMode: 240
; IeeeMode: 1
; LDSByteSize: 0 bytes/workgroup (compile time only)
; SGPRBlocks: 0
; VGPRBlocks: 0
; NumSGPRsForWavesPerEU: 8
; NumVGPRsForWavesPerEU: 4
; NamedBarCnt: 0
; Occupancy: 16
; WaveLimiterHint : 1
; COMPUTE_PGM_RSRC2:SCRATCH_EN: 0
; COMPUTE_PGM_RSRC2:USER_SGPR: 2
; COMPUTE_PGM_RSRC2:TRAP_HANDLER: 0
; COMPUTE_PGM_RSRC2:TGID_X_EN: 1
; COMPUTE_PGM_RSRC2:TGID_Y_EN: 0
; COMPUTE_PGM_RSRC2:TGID_Z_EN: 0
; COMPUTE_PGM_RSRC2:TIDIG_COMP_CNT: 0
	.section	.text._ZN9rocsparseL25kernel_set_permuted_arrayILj1024E21rocsparse_complex_numIfEiEEvT1_PT0_PKS4_PKS3_,"axG",@progbits,_ZN9rocsparseL25kernel_set_permuted_arrayILj1024E21rocsparse_complex_numIfEiEEvT1_PT0_PKS4_PKS3_,comdat
	.globl	_ZN9rocsparseL25kernel_set_permuted_arrayILj1024E21rocsparse_complex_numIfEiEEvT1_PT0_PKS4_PKS3_ ; -- Begin function _ZN9rocsparseL25kernel_set_permuted_arrayILj1024E21rocsparse_complex_numIfEiEEvT1_PT0_PKS4_PKS3_
	.p2align	8
	.type	_ZN9rocsparseL25kernel_set_permuted_arrayILj1024E21rocsparse_complex_numIfEiEEvT1_PT0_PKS4_PKS3_,@function
_ZN9rocsparseL25kernel_set_permuted_arrayILj1024E21rocsparse_complex_numIfEiEEvT1_PT0_PKS4_PKS3_: ; @_ZN9rocsparseL25kernel_set_permuted_arrayILj1024E21rocsparse_complex_numIfEiEEvT1_PT0_PKS4_PKS3_
; %bb.0:
	s_clause 0x1
	s_load_b32 s2, s[0:1], 0x2c
	s_load_b32 s3, s[0:1], 0x0
	s_bfe_u32 s4, ttmp6, 0x4000c
	s_and_b32 s5, ttmp6, 15
	s_add_co_i32 s4, s4, 1
	s_getreg_b32 s6, hwreg(HW_REG_IB_STS2, 6, 4)
	s_mul_i32 s4, ttmp9, s4
	s_delay_alu instid0(SALU_CYCLE_1) | instskip(SKIP_4) | instid1(SALU_CYCLE_1)
	s_add_co_i32 s5, s5, s4
	s_wait_kmcnt 0x0
	s_and_b32 s2, s2, 0xffff
	s_cmp_eq_u32 s6, 0
	s_cselect_b32 s4, ttmp9, s5
	v_mad_u32 v0, s4, s2, v0
	s_mov_b32 s2, exec_lo
	s_delay_alu instid0(VALU_DEP_1)
	v_cmpx_gt_i32_e64 s3, v0
	s_cbranch_execz .LBB11_2
; %bb.1:
	s_clause 0x1
	s_load_b64 s[2:3], s[0:1], 0x18
	s_load_b128 s[4:7], s[0:1], 0x8
	s_wait_kmcnt 0x0
	s_clause 0x1
	global_load_b32 v1, v0, s[2:3] scale_offset
	global_load_b64 v[2:3], v0, s[6:7] scale_offset
	s_wait_loadcnt 0x0
	global_store_b64 v1, v[2:3], s[4:5] scale_offset
.LBB11_2:
	s_endpgm
	.section	.rodata,"a",@progbits
	.p2align	6, 0x0
	.amdhsa_kernel _ZN9rocsparseL25kernel_set_permuted_arrayILj1024E21rocsparse_complex_numIfEiEEvT1_PT0_PKS4_PKS3_
		.amdhsa_group_segment_fixed_size 0
		.amdhsa_private_segment_fixed_size 0
		.amdhsa_kernarg_size 288
		.amdhsa_user_sgpr_count 2
		.amdhsa_user_sgpr_dispatch_ptr 0
		.amdhsa_user_sgpr_queue_ptr 0
		.amdhsa_user_sgpr_kernarg_segment_ptr 1
		.amdhsa_user_sgpr_dispatch_id 0
		.amdhsa_user_sgpr_kernarg_preload_length 0
		.amdhsa_user_sgpr_kernarg_preload_offset 0
		.amdhsa_user_sgpr_private_segment_size 0
		.amdhsa_wavefront_size32 1
		.amdhsa_uses_dynamic_stack 0
		.amdhsa_enable_private_segment 0
		.amdhsa_system_sgpr_workgroup_id_x 1
		.amdhsa_system_sgpr_workgroup_id_y 0
		.amdhsa_system_sgpr_workgroup_id_z 0
		.amdhsa_system_sgpr_workgroup_info 0
		.amdhsa_system_vgpr_workitem_id 0
		.amdhsa_next_free_vgpr 4
		.amdhsa_next_free_sgpr 8
		.amdhsa_named_barrier_count 0
		.amdhsa_reserve_vcc 0
		.amdhsa_float_round_mode_32 0
		.amdhsa_float_round_mode_16_64 0
		.amdhsa_float_denorm_mode_32 3
		.amdhsa_float_denorm_mode_16_64 3
		.amdhsa_fp16_overflow 0
		.amdhsa_memory_ordered 1
		.amdhsa_forward_progress 1
		.amdhsa_inst_pref_size 2
		.amdhsa_round_robin_scheduling 0
		.amdhsa_exception_fp_ieee_invalid_op 0
		.amdhsa_exception_fp_denorm_src 0
		.amdhsa_exception_fp_ieee_div_zero 0
		.amdhsa_exception_fp_ieee_overflow 0
		.amdhsa_exception_fp_ieee_underflow 0
		.amdhsa_exception_fp_ieee_inexact 0
		.amdhsa_exception_int_div_zero 0
	.end_amdhsa_kernel
	.section	.text._ZN9rocsparseL25kernel_set_permuted_arrayILj1024E21rocsparse_complex_numIfEiEEvT1_PT0_PKS4_PKS3_,"axG",@progbits,_ZN9rocsparseL25kernel_set_permuted_arrayILj1024E21rocsparse_complex_numIfEiEEvT1_PT0_PKS4_PKS3_,comdat
.Lfunc_end11:
	.size	_ZN9rocsparseL25kernel_set_permuted_arrayILj1024E21rocsparse_complex_numIfEiEEvT1_PT0_PKS4_PKS3_, .Lfunc_end11-_ZN9rocsparseL25kernel_set_permuted_arrayILj1024E21rocsparse_complex_numIfEiEEvT1_PT0_PKS4_PKS3_
                                        ; -- End function
	.set _ZN9rocsparseL25kernel_set_permuted_arrayILj1024E21rocsparse_complex_numIfEiEEvT1_PT0_PKS4_PKS3_.num_vgpr, 4
	.set _ZN9rocsparseL25kernel_set_permuted_arrayILj1024E21rocsparse_complex_numIfEiEEvT1_PT0_PKS4_PKS3_.num_agpr, 0
	.set _ZN9rocsparseL25kernel_set_permuted_arrayILj1024E21rocsparse_complex_numIfEiEEvT1_PT0_PKS4_PKS3_.numbered_sgpr, 8
	.set _ZN9rocsparseL25kernel_set_permuted_arrayILj1024E21rocsparse_complex_numIfEiEEvT1_PT0_PKS4_PKS3_.num_named_barrier, 0
	.set _ZN9rocsparseL25kernel_set_permuted_arrayILj1024E21rocsparse_complex_numIfEiEEvT1_PT0_PKS4_PKS3_.private_seg_size, 0
	.set _ZN9rocsparseL25kernel_set_permuted_arrayILj1024E21rocsparse_complex_numIfEiEEvT1_PT0_PKS4_PKS3_.uses_vcc, 0
	.set _ZN9rocsparseL25kernel_set_permuted_arrayILj1024E21rocsparse_complex_numIfEiEEvT1_PT0_PKS4_PKS3_.uses_flat_scratch, 0
	.set _ZN9rocsparseL25kernel_set_permuted_arrayILj1024E21rocsparse_complex_numIfEiEEvT1_PT0_PKS4_PKS3_.has_dyn_sized_stack, 0
	.set _ZN9rocsparseL25kernel_set_permuted_arrayILj1024E21rocsparse_complex_numIfEiEEvT1_PT0_PKS4_PKS3_.has_recursion, 0
	.set _ZN9rocsparseL25kernel_set_permuted_arrayILj1024E21rocsparse_complex_numIfEiEEvT1_PT0_PKS4_PKS3_.has_indirect_call, 0
	.section	.AMDGPU.csdata,"",@progbits
; Kernel info:
; codeLenInByte = 172
; TotalNumSgprs: 8
; NumVgprs: 4
; ScratchSize: 0
; MemoryBound: 0
; FloatMode: 240
; IeeeMode: 1
; LDSByteSize: 0 bytes/workgroup (compile time only)
; SGPRBlocks: 0
; VGPRBlocks: 0
; NumSGPRsForWavesPerEU: 8
; NumVGPRsForWavesPerEU: 4
; NamedBarCnt: 0
; Occupancy: 16
; WaveLimiterHint : 1
; COMPUTE_PGM_RSRC2:SCRATCH_EN: 0
; COMPUTE_PGM_RSRC2:USER_SGPR: 2
; COMPUTE_PGM_RSRC2:TRAP_HANDLER: 0
; COMPUTE_PGM_RSRC2:TGID_X_EN: 1
; COMPUTE_PGM_RSRC2:TGID_Y_EN: 0
; COMPUTE_PGM_RSRC2:TGID_Z_EN: 0
; COMPUTE_PGM_RSRC2:TIDIG_COMP_CNT: 0
	.section	.text._ZN9rocsparseL25kernel_set_identity_arrayILj1024E21rocsparse_complex_numIdEiEEvT1_PT0_,"axG",@progbits,_ZN9rocsparseL25kernel_set_identity_arrayILj1024E21rocsparse_complex_numIdEiEEvT1_PT0_,comdat
	.globl	_ZN9rocsparseL25kernel_set_identity_arrayILj1024E21rocsparse_complex_numIdEiEEvT1_PT0_ ; -- Begin function _ZN9rocsparseL25kernel_set_identity_arrayILj1024E21rocsparse_complex_numIdEiEEvT1_PT0_
	.p2align	8
	.type	_ZN9rocsparseL25kernel_set_identity_arrayILj1024E21rocsparse_complex_numIdEiEEvT1_PT0_,@function
_ZN9rocsparseL25kernel_set_identity_arrayILj1024E21rocsparse_complex_numIdEiEEvT1_PT0_: ; @_ZN9rocsparseL25kernel_set_identity_arrayILj1024E21rocsparse_complex_numIdEiEEvT1_PT0_
; %bb.0:
	s_clause 0x1
	s_load_b32 s2, s[0:1], 0x1c
	s_load_b32 s3, s[0:1], 0x0
	s_bfe_u32 s4, ttmp6, 0x4000c
	s_and_b32 s5, ttmp6, 15
	s_add_co_i32 s4, s4, 1
	s_getreg_b32 s6, hwreg(HW_REG_IB_STS2, 6, 4)
	s_mul_i32 s4, ttmp9, s4
	s_delay_alu instid0(SALU_CYCLE_1) | instskip(SKIP_4) | instid1(SALU_CYCLE_1)
	s_add_co_i32 s5, s5, s4
	s_wait_kmcnt 0x0
	s_and_b32 s2, s2, 0xffff
	s_cmp_eq_u32 s6, 0
	s_cselect_b32 s4, ttmp9, s5
	v_mad_u32 v0, s4, s2, v0
	s_mov_b32 s2, exec_lo
	s_delay_alu instid0(VALU_DEP_1)
	v_cmpx_gt_i32_e64 s3, v0
	s_cbranch_execz .LBB12_2
; %bb.1:
	s_load_b64 s[0:1], s[0:1], 0x8
	v_dual_mov_b32 v2, 0 :: v_dual_mov_b32 v3, 0x3ff00000
	s_delay_alu instid0(VALU_DEP_1)
	v_dual_mov_b32 v4, v2 :: v_dual_mov_b32 v5, v2
	s_wait_kmcnt 0x0
	global_store_b128 v0, v[2:5], s[0:1] scale_offset
.LBB12_2:
	s_endpgm
	.section	.rodata,"a",@progbits
	.p2align	6, 0x0
	.amdhsa_kernel _ZN9rocsparseL25kernel_set_identity_arrayILj1024E21rocsparse_complex_numIdEiEEvT1_PT0_
		.amdhsa_group_segment_fixed_size 0
		.amdhsa_private_segment_fixed_size 0
		.amdhsa_kernarg_size 272
		.amdhsa_user_sgpr_count 2
		.amdhsa_user_sgpr_dispatch_ptr 0
		.amdhsa_user_sgpr_queue_ptr 0
		.amdhsa_user_sgpr_kernarg_segment_ptr 1
		.amdhsa_user_sgpr_dispatch_id 0
		.amdhsa_user_sgpr_kernarg_preload_length 0
		.amdhsa_user_sgpr_kernarg_preload_offset 0
		.amdhsa_user_sgpr_private_segment_size 0
		.amdhsa_wavefront_size32 1
		.amdhsa_uses_dynamic_stack 0
		.amdhsa_enable_private_segment 0
		.amdhsa_system_sgpr_workgroup_id_x 1
		.amdhsa_system_sgpr_workgroup_id_y 0
		.amdhsa_system_sgpr_workgroup_id_z 0
		.amdhsa_system_sgpr_workgroup_info 0
		.amdhsa_system_vgpr_workitem_id 0
		.amdhsa_next_free_vgpr 6
		.amdhsa_next_free_sgpr 7
		.amdhsa_named_barrier_count 0
		.amdhsa_reserve_vcc 0
		.amdhsa_float_round_mode_32 0
		.amdhsa_float_round_mode_16_64 0
		.amdhsa_float_denorm_mode_32 3
		.amdhsa_float_denorm_mode_16_64 3
		.amdhsa_fp16_overflow 0
		.amdhsa_memory_ordered 1
		.amdhsa_forward_progress 1
		.amdhsa_inst_pref_size 2
		.amdhsa_round_robin_scheduling 0
		.amdhsa_exception_fp_ieee_invalid_op 0
		.amdhsa_exception_fp_denorm_src 0
		.amdhsa_exception_fp_ieee_div_zero 0
		.amdhsa_exception_fp_ieee_overflow 0
		.amdhsa_exception_fp_ieee_underflow 0
		.amdhsa_exception_fp_ieee_inexact 0
		.amdhsa_exception_int_div_zero 0
	.end_amdhsa_kernel
	.section	.text._ZN9rocsparseL25kernel_set_identity_arrayILj1024E21rocsparse_complex_numIdEiEEvT1_PT0_,"axG",@progbits,_ZN9rocsparseL25kernel_set_identity_arrayILj1024E21rocsparse_complex_numIdEiEEvT1_PT0_,comdat
.Lfunc_end12:
	.size	_ZN9rocsparseL25kernel_set_identity_arrayILj1024E21rocsparse_complex_numIdEiEEvT1_PT0_, .Lfunc_end12-_ZN9rocsparseL25kernel_set_identity_arrayILj1024E21rocsparse_complex_numIdEiEEvT1_PT0_
                                        ; -- End function
	.set _ZN9rocsparseL25kernel_set_identity_arrayILj1024E21rocsparse_complex_numIdEiEEvT1_PT0_.num_vgpr, 6
	.set _ZN9rocsparseL25kernel_set_identity_arrayILj1024E21rocsparse_complex_numIdEiEEvT1_PT0_.num_agpr, 0
	.set _ZN9rocsparseL25kernel_set_identity_arrayILj1024E21rocsparse_complex_numIdEiEEvT1_PT0_.numbered_sgpr, 7
	.set _ZN9rocsparseL25kernel_set_identity_arrayILj1024E21rocsparse_complex_numIdEiEEvT1_PT0_.num_named_barrier, 0
	.set _ZN9rocsparseL25kernel_set_identity_arrayILj1024E21rocsparse_complex_numIdEiEEvT1_PT0_.private_seg_size, 0
	.set _ZN9rocsparseL25kernel_set_identity_arrayILj1024E21rocsparse_complex_numIdEiEEvT1_PT0_.uses_vcc, 0
	.set _ZN9rocsparseL25kernel_set_identity_arrayILj1024E21rocsparse_complex_numIdEiEEvT1_PT0_.uses_flat_scratch, 0
	.set _ZN9rocsparseL25kernel_set_identity_arrayILj1024E21rocsparse_complex_numIdEiEEvT1_PT0_.has_dyn_sized_stack, 0
	.set _ZN9rocsparseL25kernel_set_identity_arrayILj1024E21rocsparse_complex_numIdEiEEvT1_PT0_.has_recursion, 0
	.set _ZN9rocsparseL25kernel_set_identity_arrayILj1024E21rocsparse_complex_numIdEiEEvT1_PT0_.has_indirect_call, 0
	.section	.AMDGPU.csdata,"",@progbits
; Kernel info:
; codeLenInByte = 152
; TotalNumSgprs: 7
; NumVgprs: 6
; ScratchSize: 0
; MemoryBound: 0
; FloatMode: 240
; IeeeMode: 1
; LDSByteSize: 0 bytes/workgroup (compile time only)
; SGPRBlocks: 0
; VGPRBlocks: 0
; NumSGPRsForWavesPerEU: 7
; NumVGPRsForWavesPerEU: 6
; NamedBarCnt: 0
; Occupancy: 16
; WaveLimiterHint : 0
; COMPUTE_PGM_RSRC2:SCRATCH_EN: 0
; COMPUTE_PGM_RSRC2:USER_SGPR: 2
; COMPUTE_PGM_RSRC2:TRAP_HANDLER: 0
; COMPUTE_PGM_RSRC2:TGID_X_EN: 1
; COMPUTE_PGM_RSRC2:TGID_Y_EN: 0
; COMPUTE_PGM_RSRC2:TGID_Z_EN: 0
; COMPUTE_PGM_RSRC2:TIDIG_COMP_CNT: 0
	.section	.text._ZN9rocsparseL25kernel_get_permuted_arrayILj1024E21rocsparse_complex_numIdEiEEvT1_PKT0_PS4_PKS3_,"axG",@progbits,_ZN9rocsparseL25kernel_get_permuted_arrayILj1024E21rocsparse_complex_numIdEiEEvT1_PKT0_PS4_PKS3_,comdat
	.globl	_ZN9rocsparseL25kernel_get_permuted_arrayILj1024E21rocsparse_complex_numIdEiEEvT1_PKT0_PS4_PKS3_ ; -- Begin function _ZN9rocsparseL25kernel_get_permuted_arrayILj1024E21rocsparse_complex_numIdEiEEvT1_PKT0_PS4_PKS3_
	.p2align	8
	.type	_ZN9rocsparseL25kernel_get_permuted_arrayILj1024E21rocsparse_complex_numIdEiEEvT1_PKT0_PS4_PKS3_,@function
_ZN9rocsparseL25kernel_get_permuted_arrayILj1024E21rocsparse_complex_numIdEiEEvT1_PKT0_PS4_PKS3_: ; @_ZN9rocsparseL25kernel_get_permuted_arrayILj1024E21rocsparse_complex_numIdEiEEvT1_PKT0_PS4_PKS3_
; %bb.0:
	s_clause 0x1
	s_load_b32 s2, s[0:1], 0x2c
	s_load_b32 s3, s[0:1], 0x0
	s_bfe_u32 s4, ttmp6, 0x4000c
	s_and_b32 s5, ttmp6, 15
	s_add_co_i32 s4, s4, 1
	s_getreg_b32 s6, hwreg(HW_REG_IB_STS2, 6, 4)
	s_mul_i32 s4, ttmp9, s4
	s_delay_alu instid0(SALU_CYCLE_1) | instskip(SKIP_4) | instid1(SALU_CYCLE_1)
	s_add_co_i32 s5, s5, s4
	s_wait_kmcnt 0x0
	s_and_b32 s2, s2, 0xffff
	s_cmp_eq_u32 s6, 0
	s_cselect_b32 s4, ttmp9, s5
	v_mad_u32 v0, s4, s2, v0
	s_mov_b32 s2, exec_lo
	s_delay_alu instid0(VALU_DEP_1)
	v_cmpx_gt_i32_e64 s3, v0
	s_cbranch_execz .LBB13_2
; %bb.1:
	s_clause 0x1
	s_load_b64 s[2:3], s[0:1], 0x18
	s_load_b128 s[4:7], s[0:1], 0x8
	s_wait_kmcnt 0x0
	global_load_b32 v1, v0, s[2:3] scale_offset
	s_wait_loadcnt 0x0
	global_load_b128 v[2:5], v1, s[4:5] scale_offset
	s_wait_loadcnt 0x0
	global_store_b128 v0, v[2:5], s[6:7] scale_offset
.LBB13_2:
	s_endpgm
	.section	.rodata,"a",@progbits
	.p2align	6, 0x0
	.amdhsa_kernel _ZN9rocsparseL25kernel_get_permuted_arrayILj1024E21rocsparse_complex_numIdEiEEvT1_PKT0_PS4_PKS3_
		.amdhsa_group_segment_fixed_size 0
		.amdhsa_private_segment_fixed_size 0
		.amdhsa_kernarg_size 288
		.amdhsa_user_sgpr_count 2
		.amdhsa_user_sgpr_dispatch_ptr 0
		.amdhsa_user_sgpr_queue_ptr 0
		.amdhsa_user_sgpr_kernarg_segment_ptr 1
		.amdhsa_user_sgpr_dispatch_id 0
		.amdhsa_user_sgpr_kernarg_preload_length 0
		.amdhsa_user_sgpr_kernarg_preload_offset 0
		.amdhsa_user_sgpr_private_segment_size 0
		.amdhsa_wavefront_size32 1
		.amdhsa_uses_dynamic_stack 0
		.amdhsa_enable_private_segment 0
		.amdhsa_system_sgpr_workgroup_id_x 1
		.amdhsa_system_sgpr_workgroup_id_y 0
		.amdhsa_system_sgpr_workgroup_id_z 0
		.amdhsa_system_sgpr_workgroup_info 0
		.amdhsa_system_vgpr_workitem_id 0
		.amdhsa_next_free_vgpr 6
		.amdhsa_next_free_sgpr 8
		.amdhsa_named_barrier_count 0
		.amdhsa_reserve_vcc 0
		.amdhsa_float_round_mode_32 0
		.amdhsa_float_round_mode_16_64 0
		.amdhsa_float_denorm_mode_32 3
		.amdhsa_float_denorm_mode_16_64 3
		.amdhsa_fp16_overflow 0
		.amdhsa_memory_ordered 1
		.amdhsa_forward_progress 1
		.amdhsa_inst_pref_size 2
		.amdhsa_round_robin_scheduling 0
		.amdhsa_exception_fp_ieee_invalid_op 0
		.amdhsa_exception_fp_denorm_src 0
		.amdhsa_exception_fp_ieee_div_zero 0
		.amdhsa_exception_fp_ieee_overflow 0
		.amdhsa_exception_fp_ieee_underflow 0
		.amdhsa_exception_fp_ieee_inexact 0
		.amdhsa_exception_int_div_zero 0
	.end_amdhsa_kernel
	.section	.text._ZN9rocsparseL25kernel_get_permuted_arrayILj1024E21rocsparse_complex_numIdEiEEvT1_PKT0_PS4_PKS3_,"axG",@progbits,_ZN9rocsparseL25kernel_get_permuted_arrayILj1024E21rocsparse_complex_numIdEiEEvT1_PKT0_PS4_PKS3_,comdat
.Lfunc_end13:
	.size	_ZN9rocsparseL25kernel_get_permuted_arrayILj1024E21rocsparse_complex_numIdEiEEvT1_PKT0_PS4_PKS3_, .Lfunc_end13-_ZN9rocsparseL25kernel_get_permuted_arrayILj1024E21rocsparse_complex_numIdEiEEvT1_PKT0_PS4_PKS3_
                                        ; -- End function
	.set _ZN9rocsparseL25kernel_get_permuted_arrayILj1024E21rocsparse_complex_numIdEiEEvT1_PKT0_PS4_PKS3_.num_vgpr, 6
	.set _ZN9rocsparseL25kernel_get_permuted_arrayILj1024E21rocsparse_complex_numIdEiEEvT1_PKT0_PS4_PKS3_.num_agpr, 0
	.set _ZN9rocsparseL25kernel_get_permuted_arrayILj1024E21rocsparse_complex_numIdEiEEvT1_PKT0_PS4_PKS3_.numbered_sgpr, 8
	.set _ZN9rocsparseL25kernel_get_permuted_arrayILj1024E21rocsparse_complex_numIdEiEEvT1_PKT0_PS4_PKS3_.num_named_barrier, 0
	.set _ZN9rocsparseL25kernel_get_permuted_arrayILj1024E21rocsparse_complex_numIdEiEEvT1_PKT0_PS4_PKS3_.private_seg_size, 0
	.set _ZN9rocsparseL25kernel_get_permuted_arrayILj1024E21rocsparse_complex_numIdEiEEvT1_PKT0_PS4_PKS3_.uses_vcc, 0
	.set _ZN9rocsparseL25kernel_get_permuted_arrayILj1024E21rocsparse_complex_numIdEiEEvT1_PKT0_PS4_PKS3_.uses_flat_scratch, 0
	.set _ZN9rocsparseL25kernel_get_permuted_arrayILj1024E21rocsparse_complex_numIdEiEEvT1_PKT0_PS4_PKS3_.has_dyn_sized_stack, 0
	.set _ZN9rocsparseL25kernel_get_permuted_arrayILj1024E21rocsparse_complex_numIdEiEEvT1_PKT0_PS4_PKS3_.has_recursion, 0
	.set _ZN9rocsparseL25kernel_get_permuted_arrayILj1024E21rocsparse_complex_numIdEiEEvT1_PKT0_PS4_PKS3_.has_indirect_call, 0
	.section	.AMDGPU.csdata,"",@progbits
; Kernel info:
; codeLenInByte = 172
; TotalNumSgprs: 8
; NumVgprs: 6
; ScratchSize: 0
; MemoryBound: 0
; FloatMode: 240
; IeeeMode: 1
; LDSByteSize: 0 bytes/workgroup (compile time only)
; SGPRBlocks: 0
; VGPRBlocks: 0
; NumSGPRsForWavesPerEU: 8
; NumVGPRsForWavesPerEU: 6
; NamedBarCnt: 0
; Occupancy: 16
; WaveLimiterHint : 0
; COMPUTE_PGM_RSRC2:SCRATCH_EN: 0
; COMPUTE_PGM_RSRC2:USER_SGPR: 2
; COMPUTE_PGM_RSRC2:TRAP_HANDLER: 0
; COMPUTE_PGM_RSRC2:TGID_X_EN: 1
; COMPUTE_PGM_RSRC2:TGID_Y_EN: 0
; COMPUTE_PGM_RSRC2:TGID_Z_EN: 0
; COMPUTE_PGM_RSRC2:TIDIG_COMP_CNT: 0
	.section	.text._ZN9rocsparseL25kernel_set_permuted_arrayILj1024E21rocsparse_complex_numIdEiEEvT1_PT0_PKS4_PKS3_,"axG",@progbits,_ZN9rocsparseL25kernel_set_permuted_arrayILj1024E21rocsparse_complex_numIdEiEEvT1_PT0_PKS4_PKS3_,comdat
	.globl	_ZN9rocsparseL25kernel_set_permuted_arrayILj1024E21rocsparse_complex_numIdEiEEvT1_PT0_PKS4_PKS3_ ; -- Begin function _ZN9rocsparseL25kernel_set_permuted_arrayILj1024E21rocsparse_complex_numIdEiEEvT1_PT0_PKS4_PKS3_
	.p2align	8
	.type	_ZN9rocsparseL25kernel_set_permuted_arrayILj1024E21rocsparse_complex_numIdEiEEvT1_PT0_PKS4_PKS3_,@function
_ZN9rocsparseL25kernel_set_permuted_arrayILj1024E21rocsparse_complex_numIdEiEEvT1_PT0_PKS4_PKS3_: ; @_ZN9rocsparseL25kernel_set_permuted_arrayILj1024E21rocsparse_complex_numIdEiEEvT1_PT0_PKS4_PKS3_
; %bb.0:
	s_clause 0x1
	s_load_b32 s2, s[0:1], 0x2c
	s_load_b32 s3, s[0:1], 0x0
	s_bfe_u32 s4, ttmp6, 0x4000c
	s_and_b32 s5, ttmp6, 15
	s_add_co_i32 s4, s4, 1
	s_getreg_b32 s6, hwreg(HW_REG_IB_STS2, 6, 4)
	s_mul_i32 s4, ttmp9, s4
	s_delay_alu instid0(SALU_CYCLE_1) | instskip(SKIP_4) | instid1(SALU_CYCLE_1)
	s_add_co_i32 s5, s5, s4
	s_wait_kmcnt 0x0
	s_and_b32 s2, s2, 0xffff
	s_cmp_eq_u32 s6, 0
	s_cselect_b32 s4, ttmp9, s5
	v_mad_u32 v0, s4, s2, v0
	s_mov_b32 s2, exec_lo
	s_delay_alu instid0(VALU_DEP_1)
	v_cmpx_gt_i32_e64 s3, v0
	s_cbranch_execz .LBB14_2
; %bb.1:
	s_clause 0x1
	s_load_b64 s[2:3], s[0:1], 0x18
	s_load_b128 s[4:7], s[0:1], 0x8
	s_wait_kmcnt 0x0
	s_clause 0x1
	global_load_b32 v1, v0, s[2:3] scale_offset
	global_load_b128 v[2:5], v0, s[6:7] scale_offset
	s_wait_loadcnt 0x0
	global_store_b128 v1, v[2:5], s[4:5] scale_offset
.LBB14_2:
	s_endpgm
	.section	.rodata,"a",@progbits
	.p2align	6, 0x0
	.amdhsa_kernel _ZN9rocsparseL25kernel_set_permuted_arrayILj1024E21rocsparse_complex_numIdEiEEvT1_PT0_PKS4_PKS3_
		.amdhsa_group_segment_fixed_size 0
		.amdhsa_private_segment_fixed_size 0
		.amdhsa_kernarg_size 288
		.amdhsa_user_sgpr_count 2
		.amdhsa_user_sgpr_dispatch_ptr 0
		.amdhsa_user_sgpr_queue_ptr 0
		.amdhsa_user_sgpr_kernarg_segment_ptr 1
		.amdhsa_user_sgpr_dispatch_id 0
		.amdhsa_user_sgpr_kernarg_preload_length 0
		.amdhsa_user_sgpr_kernarg_preload_offset 0
		.amdhsa_user_sgpr_private_segment_size 0
		.amdhsa_wavefront_size32 1
		.amdhsa_uses_dynamic_stack 0
		.amdhsa_enable_private_segment 0
		.amdhsa_system_sgpr_workgroup_id_x 1
		.amdhsa_system_sgpr_workgroup_id_y 0
		.amdhsa_system_sgpr_workgroup_id_z 0
		.amdhsa_system_sgpr_workgroup_info 0
		.amdhsa_system_vgpr_workitem_id 0
		.amdhsa_next_free_vgpr 6
		.amdhsa_next_free_sgpr 8
		.amdhsa_named_barrier_count 0
		.amdhsa_reserve_vcc 0
		.amdhsa_float_round_mode_32 0
		.amdhsa_float_round_mode_16_64 0
		.amdhsa_float_denorm_mode_32 3
		.amdhsa_float_denorm_mode_16_64 3
		.amdhsa_fp16_overflow 0
		.amdhsa_memory_ordered 1
		.amdhsa_forward_progress 1
		.amdhsa_inst_pref_size 2
		.amdhsa_round_robin_scheduling 0
		.amdhsa_exception_fp_ieee_invalid_op 0
		.amdhsa_exception_fp_denorm_src 0
		.amdhsa_exception_fp_ieee_div_zero 0
		.amdhsa_exception_fp_ieee_overflow 0
		.amdhsa_exception_fp_ieee_underflow 0
		.amdhsa_exception_fp_ieee_inexact 0
		.amdhsa_exception_int_div_zero 0
	.end_amdhsa_kernel
	.section	.text._ZN9rocsparseL25kernel_set_permuted_arrayILj1024E21rocsparse_complex_numIdEiEEvT1_PT0_PKS4_PKS3_,"axG",@progbits,_ZN9rocsparseL25kernel_set_permuted_arrayILj1024E21rocsparse_complex_numIdEiEEvT1_PT0_PKS4_PKS3_,comdat
.Lfunc_end14:
	.size	_ZN9rocsparseL25kernel_set_permuted_arrayILj1024E21rocsparse_complex_numIdEiEEvT1_PT0_PKS4_PKS3_, .Lfunc_end14-_ZN9rocsparseL25kernel_set_permuted_arrayILj1024E21rocsparse_complex_numIdEiEEvT1_PT0_PKS4_PKS3_
                                        ; -- End function
	.set _ZN9rocsparseL25kernel_set_permuted_arrayILj1024E21rocsparse_complex_numIdEiEEvT1_PT0_PKS4_PKS3_.num_vgpr, 6
	.set _ZN9rocsparseL25kernel_set_permuted_arrayILj1024E21rocsparse_complex_numIdEiEEvT1_PT0_PKS4_PKS3_.num_agpr, 0
	.set _ZN9rocsparseL25kernel_set_permuted_arrayILj1024E21rocsparse_complex_numIdEiEEvT1_PT0_PKS4_PKS3_.numbered_sgpr, 8
	.set _ZN9rocsparseL25kernel_set_permuted_arrayILj1024E21rocsparse_complex_numIdEiEEvT1_PT0_PKS4_PKS3_.num_named_barrier, 0
	.set _ZN9rocsparseL25kernel_set_permuted_arrayILj1024E21rocsparse_complex_numIdEiEEvT1_PT0_PKS4_PKS3_.private_seg_size, 0
	.set _ZN9rocsparseL25kernel_set_permuted_arrayILj1024E21rocsparse_complex_numIdEiEEvT1_PT0_PKS4_PKS3_.uses_vcc, 0
	.set _ZN9rocsparseL25kernel_set_permuted_arrayILj1024E21rocsparse_complex_numIdEiEEvT1_PT0_PKS4_PKS3_.uses_flat_scratch, 0
	.set _ZN9rocsparseL25kernel_set_permuted_arrayILj1024E21rocsparse_complex_numIdEiEEvT1_PT0_PKS4_PKS3_.has_dyn_sized_stack, 0
	.set _ZN9rocsparseL25kernel_set_permuted_arrayILj1024E21rocsparse_complex_numIdEiEEvT1_PT0_PKS4_PKS3_.has_recursion, 0
	.set _ZN9rocsparseL25kernel_set_permuted_arrayILj1024E21rocsparse_complex_numIdEiEEvT1_PT0_PKS4_PKS3_.has_indirect_call, 0
	.section	.AMDGPU.csdata,"",@progbits
; Kernel info:
; codeLenInByte = 172
; TotalNumSgprs: 8
; NumVgprs: 6
; ScratchSize: 0
; MemoryBound: 0
; FloatMode: 240
; IeeeMode: 1
; LDSByteSize: 0 bytes/workgroup (compile time only)
; SGPRBlocks: 0
; VGPRBlocks: 0
; NumSGPRsForWavesPerEU: 8
; NumVGPRsForWavesPerEU: 6
; NamedBarCnt: 0
; Occupancy: 16
; WaveLimiterHint : 1
; COMPUTE_PGM_RSRC2:SCRATCH_EN: 0
; COMPUTE_PGM_RSRC2:USER_SGPR: 2
; COMPUTE_PGM_RSRC2:TRAP_HANDLER: 0
; COMPUTE_PGM_RSRC2:TGID_X_EN: 1
; COMPUTE_PGM_RSRC2:TGID_Y_EN: 0
; COMPUTE_PGM_RSRC2:TGID_Z_EN: 0
; COMPUTE_PGM_RSRC2:TIDIG_COMP_CNT: 0
	.section	.text._ZN9rocsparseL25kernel_set_identity_arrayILj256EfiEEvT1_PT0_,"axG",@progbits,_ZN9rocsparseL25kernel_set_identity_arrayILj256EfiEEvT1_PT0_,comdat
	.globl	_ZN9rocsparseL25kernel_set_identity_arrayILj256EfiEEvT1_PT0_ ; -- Begin function _ZN9rocsparseL25kernel_set_identity_arrayILj256EfiEEvT1_PT0_
	.p2align	8
	.type	_ZN9rocsparseL25kernel_set_identity_arrayILj256EfiEEvT1_PT0_,@function
_ZN9rocsparseL25kernel_set_identity_arrayILj256EfiEEvT1_PT0_: ; @_ZN9rocsparseL25kernel_set_identity_arrayILj256EfiEEvT1_PT0_
; %bb.0:
	s_clause 0x1
	s_load_b32 s2, s[0:1], 0x1c
	s_load_b32 s3, s[0:1], 0x0
	s_bfe_u32 s4, ttmp6, 0x4000c
	s_and_b32 s5, ttmp6, 15
	s_add_co_i32 s4, s4, 1
	s_getreg_b32 s6, hwreg(HW_REG_IB_STS2, 6, 4)
	s_mul_i32 s4, ttmp9, s4
	s_delay_alu instid0(SALU_CYCLE_1) | instskip(SKIP_4) | instid1(SALU_CYCLE_1)
	s_add_co_i32 s5, s5, s4
	s_wait_kmcnt 0x0
	s_and_b32 s2, s2, 0xffff
	s_cmp_eq_u32 s6, 0
	s_cselect_b32 s4, ttmp9, s5
	v_mad_u32 v0, s4, s2, v0
	s_mov_b32 s2, exec_lo
	s_delay_alu instid0(VALU_DEP_1)
	v_cmpx_gt_i32_e64 s3, v0
	s_cbranch_execz .LBB15_2
; %bb.1:
	s_load_b64 s[0:1], s[0:1], 0x8
	v_mov_b32_e32 v1, 1.0
	s_wait_kmcnt 0x0
	global_store_b32 v0, v1, s[0:1] scale_offset
.LBB15_2:
	s_endpgm
	.section	.rodata,"a",@progbits
	.p2align	6, 0x0
	.amdhsa_kernel _ZN9rocsparseL25kernel_set_identity_arrayILj256EfiEEvT1_PT0_
		.amdhsa_group_segment_fixed_size 0
		.amdhsa_private_segment_fixed_size 0
		.amdhsa_kernarg_size 272
		.amdhsa_user_sgpr_count 2
		.amdhsa_user_sgpr_dispatch_ptr 0
		.amdhsa_user_sgpr_queue_ptr 0
		.amdhsa_user_sgpr_kernarg_segment_ptr 1
		.amdhsa_user_sgpr_dispatch_id 0
		.amdhsa_user_sgpr_kernarg_preload_length 0
		.amdhsa_user_sgpr_kernarg_preload_offset 0
		.amdhsa_user_sgpr_private_segment_size 0
		.amdhsa_wavefront_size32 1
		.amdhsa_uses_dynamic_stack 0
		.amdhsa_enable_private_segment 0
		.amdhsa_system_sgpr_workgroup_id_x 1
		.amdhsa_system_sgpr_workgroup_id_y 0
		.amdhsa_system_sgpr_workgroup_id_z 0
		.amdhsa_system_sgpr_workgroup_info 0
		.amdhsa_system_vgpr_workitem_id 0
		.amdhsa_next_free_vgpr 2
		.amdhsa_next_free_sgpr 7
		.amdhsa_named_barrier_count 0
		.amdhsa_reserve_vcc 0
		.amdhsa_float_round_mode_32 0
		.amdhsa_float_round_mode_16_64 0
		.amdhsa_float_denorm_mode_32 3
		.amdhsa_float_denorm_mode_16_64 3
		.amdhsa_fp16_overflow 0
		.amdhsa_memory_ordered 1
		.amdhsa_forward_progress 1
		.amdhsa_inst_pref_size 2
		.amdhsa_round_robin_scheduling 0
		.amdhsa_exception_fp_ieee_invalid_op 0
		.amdhsa_exception_fp_denorm_src 0
		.amdhsa_exception_fp_ieee_div_zero 0
		.amdhsa_exception_fp_ieee_overflow 0
		.amdhsa_exception_fp_ieee_underflow 0
		.amdhsa_exception_fp_ieee_inexact 0
		.amdhsa_exception_int_div_zero 0
	.end_amdhsa_kernel
	.section	.text._ZN9rocsparseL25kernel_set_identity_arrayILj256EfiEEvT1_PT0_,"axG",@progbits,_ZN9rocsparseL25kernel_set_identity_arrayILj256EfiEEvT1_PT0_,comdat
.Lfunc_end15:
	.size	_ZN9rocsparseL25kernel_set_identity_arrayILj256EfiEEvT1_PT0_, .Lfunc_end15-_ZN9rocsparseL25kernel_set_identity_arrayILj256EfiEEvT1_PT0_
                                        ; -- End function
	.set _ZN9rocsparseL25kernel_set_identity_arrayILj256EfiEEvT1_PT0_.num_vgpr, 2
	.set _ZN9rocsparseL25kernel_set_identity_arrayILj256EfiEEvT1_PT0_.num_agpr, 0
	.set _ZN9rocsparseL25kernel_set_identity_arrayILj256EfiEEvT1_PT0_.numbered_sgpr, 7
	.set _ZN9rocsparseL25kernel_set_identity_arrayILj256EfiEEvT1_PT0_.num_named_barrier, 0
	.set _ZN9rocsparseL25kernel_set_identity_arrayILj256EfiEEvT1_PT0_.private_seg_size, 0
	.set _ZN9rocsparseL25kernel_set_identity_arrayILj256EfiEEvT1_PT0_.uses_vcc, 0
	.set _ZN9rocsparseL25kernel_set_identity_arrayILj256EfiEEvT1_PT0_.uses_flat_scratch, 0
	.set _ZN9rocsparseL25kernel_set_identity_arrayILj256EfiEEvT1_PT0_.has_dyn_sized_stack, 0
	.set _ZN9rocsparseL25kernel_set_identity_arrayILj256EfiEEvT1_PT0_.has_recursion, 0
	.set _ZN9rocsparseL25kernel_set_identity_arrayILj256EfiEEvT1_PT0_.has_indirect_call, 0
	.section	.AMDGPU.csdata,"",@progbits
; Kernel info:
; codeLenInByte = 132
; TotalNumSgprs: 7
; NumVgprs: 2
; ScratchSize: 0
; MemoryBound: 0
; FloatMode: 240
; IeeeMode: 1
; LDSByteSize: 0 bytes/workgroup (compile time only)
; SGPRBlocks: 0
; VGPRBlocks: 0
; NumSGPRsForWavesPerEU: 7
; NumVGPRsForWavesPerEU: 2
; NamedBarCnt: 0
; Occupancy: 16
; WaveLimiterHint : 0
; COMPUTE_PGM_RSRC2:SCRATCH_EN: 0
; COMPUTE_PGM_RSRC2:USER_SGPR: 2
; COMPUTE_PGM_RSRC2:TRAP_HANDLER: 0
; COMPUTE_PGM_RSRC2:TGID_X_EN: 1
; COMPUTE_PGM_RSRC2:TGID_Y_EN: 0
; COMPUTE_PGM_RSRC2:TGID_Z_EN: 0
; COMPUTE_PGM_RSRC2:TIDIG_COMP_CNT: 0
	.section	.text._ZN9rocsparseL25kernel_get_permuted_arrayILj256EfiEEvT1_PKT0_PS2_PKS1_,"axG",@progbits,_ZN9rocsparseL25kernel_get_permuted_arrayILj256EfiEEvT1_PKT0_PS2_PKS1_,comdat
	.globl	_ZN9rocsparseL25kernel_get_permuted_arrayILj256EfiEEvT1_PKT0_PS2_PKS1_ ; -- Begin function _ZN9rocsparseL25kernel_get_permuted_arrayILj256EfiEEvT1_PKT0_PS2_PKS1_
	.p2align	8
	.type	_ZN9rocsparseL25kernel_get_permuted_arrayILj256EfiEEvT1_PKT0_PS2_PKS1_,@function
_ZN9rocsparseL25kernel_get_permuted_arrayILj256EfiEEvT1_PKT0_PS2_PKS1_: ; @_ZN9rocsparseL25kernel_get_permuted_arrayILj256EfiEEvT1_PKT0_PS2_PKS1_
; %bb.0:
	s_clause 0x1
	s_load_b32 s2, s[0:1], 0x2c
	s_load_b32 s3, s[0:1], 0x0
	s_bfe_u32 s4, ttmp6, 0x4000c
	s_and_b32 s5, ttmp6, 15
	s_add_co_i32 s4, s4, 1
	s_getreg_b32 s6, hwreg(HW_REG_IB_STS2, 6, 4)
	s_mul_i32 s4, ttmp9, s4
	s_delay_alu instid0(SALU_CYCLE_1) | instskip(SKIP_4) | instid1(SALU_CYCLE_1)
	s_add_co_i32 s5, s5, s4
	s_wait_kmcnt 0x0
	s_and_b32 s2, s2, 0xffff
	s_cmp_eq_u32 s6, 0
	s_cselect_b32 s4, ttmp9, s5
	v_mad_u32 v0, s4, s2, v0
	s_mov_b32 s2, exec_lo
	s_delay_alu instid0(VALU_DEP_1)
	v_cmpx_gt_i32_e64 s3, v0
	s_cbranch_execz .LBB16_2
; %bb.1:
	s_clause 0x1
	s_load_b64 s[2:3], s[0:1], 0x18
	s_load_b128 s[4:7], s[0:1], 0x8
	s_wait_kmcnt 0x0
	global_load_b32 v1, v0, s[2:3] scale_offset
	s_wait_loadcnt 0x0
	global_load_b32 v1, v1, s[4:5] scale_offset
	s_wait_loadcnt 0x0
	global_store_b32 v0, v1, s[6:7] scale_offset
.LBB16_2:
	s_endpgm
	.section	.rodata,"a",@progbits
	.p2align	6, 0x0
	.amdhsa_kernel _ZN9rocsparseL25kernel_get_permuted_arrayILj256EfiEEvT1_PKT0_PS2_PKS1_
		.amdhsa_group_segment_fixed_size 0
		.amdhsa_private_segment_fixed_size 0
		.amdhsa_kernarg_size 288
		.amdhsa_user_sgpr_count 2
		.amdhsa_user_sgpr_dispatch_ptr 0
		.amdhsa_user_sgpr_queue_ptr 0
		.amdhsa_user_sgpr_kernarg_segment_ptr 1
		.amdhsa_user_sgpr_dispatch_id 0
		.amdhsa_user_sgpr_kernarg_preload_length 0
		.amdhsa_user_sgpr_kernarg_preload_offset 0
		.amdhsa_user_sgpr_private_segment_size 0
		.amdhsa_wavefront_size32 1
		.amdhsa_uses_dynamic_stack 0
		.amdhsa_enable_private_segment 0
		.amdhsa_system_sgpr_workgroup_id_x 1
		.amdhsa_system_sgpr_workgroup_id_y 0
		.amdhsa_system_sgpr_workgroup_id_z 0
		.amdhsa_system_sgpr_workgroup_info 0
		.amdhsa_system_vgpr_workitem_id 0
		.amdhsa_next_free_vgpr 2
		.amdhsa_next_free_sgpr 8
		.amdhsa_named_barrier_count 0
		.amdhsa_reserve_vcc 0
		.amdhsa_float_round_mode_32 0
		.amdhsa_float_round_mode_16_64 0
		.amdhsa_float_denorm_mode_32 3
		.amdhsa_float_denorm_mode_16_64 3
		.amdhsa_fp16_overflow 0
		.amdhsa_memory_ordered 1
		.amdhsa_forward_progress 1
		.amdhsa_inst_pref_size 2
		.amdhsa_round_robin_scheduling 0
		.amdhsa_exception_fp_ieee_invalid_op 0
		.amdhsa_exception_fp_denorm_src 0
		.amdhsa_exception_fp_ieee_div_zero 0
		.amdhsa_exception_fp_ieee_overflow 0
		.amdhsa_exception_fp_ieee_underflow 0
		.amdhsa_exception_fp_ieee_inexact 0
		.amdhsa_exception_int_div_zero 0
	.end_amdhsa_kernel
	.section	.text._ZN9rocsparseL25kernel_get_permuted_arrayILj256EfiEEvT1_PKT0_PS2_PKS1_,"axG",@progbits,_ZN9rocsparseL25kernel_get_permuted_arrayILj256EfiEEvT1_PKT0_PS2_PKS1_,comdat
.Lfunc_end16:
	.size	_ZN9rocsparseL25kernel_get_permuted_arrayILj256EfiEEvT1_PKT0_PS2_PKS1_, .Lfunc_end16-_ZN9rocsparseL25kernel_get_permuted_arrayILj256EfiEEvT1_PKT0_PS2_PKS1_
                                        ; -- End function
	.set _ZN9rocsparseL25kernel_get_permuted_arrayILj256EfiEEvT1_PKT0_PS2_PKS1_.num_vgpr, 2
	.set _ZN9rocsparseL25kernel_get_permuted_arrayILj256EfiEEvT1_PKT0_PS2_PKS1_.num_agpr, 0
	.set _ZN9rocsparseL25kernel_get_permuted_arrayILj256EfiEEvT1_PKT0_PS2_PKS1_.numbered_sgpr, 8
	.set _ZN9rocsparseL25kernel_get_permuted_arrayILj256EfiEEvT1_PKT0_PS2_PKS1_.num_named_barrier, 0
	.set _ZN9rocsparseL25kernel_get_permuted_arrayILj256EfiEEvT1_PKT0_PS2_PKS1_.private_seg_size, 0
	.set _ZN9rocsparseL25kernel_get_permuted_arrayILj256EfiEEvT1_PKT0_PS2_PKS1_.uses_vcc, 0
	.set _ZN9rocsparseL25kernel_get_permuted_arrayILj256EfiEEvT1_PKT0_PS2_PKS1_.uses_flat_scratch, 0
	.set _ZN9rocsparseL25kernel_get_permuted_arrayILj256EfiEEvT1_PKT0_PS2_PKS1_.has_dyn_sized_stack, 0
	.set _ZN9rocsparseL25kernel_get_permuted_arrayILj256EfiEEvT1_PKT0_PS2_PKS1_.has_recursion, 0
	.set _ZN9rocsparseL25kernel_get_permuted_arrayILj256EfiEEvT1_PKT0_PS2_PKS1_.has_indirect_call, 0
	.section	.AMDGPU.csdata,"",@progbits
; Kernel info:
; codeLenInByte = 172
; TotalNumSgprs: 8
; NumVgprs: 2
; ScratchSize: 0
; MemoryBound: 0
; FloatMode: 240
; IeeeMode: 1
; LDSByteSize: 0 bytes/workgroup (compile time only)
; SGPRBlocks: 0
; VGPRBlocks: 0
; NumSGPRsForWavesPerEU: 8
; NumVGPRsForWavesPerEU: 2
; NamedBarCnt: 0
; Occupancy: 16
; WaveLimiterHint : 1
; COMPUTE_PGM_RSRC2:SCRATCH_EN: 0
; COMPUTE_PGM_RSRC2:USER_SGPR: 2
; COMPUTE_PGM_RSRC2:TRAP_HANDLER: 0
; COMPUTE_PGM_RSRC2:TGID_X_EN: 1
; COMPUTE_PGM_RSRC2:TGID_Y_EN: 0
; COMPUTE_PGM_RSRC2:TGID_Z_EN: 0
; COMPUTE_PGM_RSRC2:TIDIG_COMP_CNT: 0
	.section	.text._ZN9rocsparseL25kernel_set_permuted_arrayILj256EfiEEvT1_PT0_PKS2_PKS1_,"axG",@progbits,_ZN9rocsparseL25kernel_set_permuted_arrayILj256EfiEEvT1_PT0_PKS2_PKS1_,comdat
	.globl	_ZN9rocsparseL25kernel_set_permuted_arrayILj256EfiEEvT1_PT0_PKS2_PKS1_ ; -- Begin function _ZN9rocsparseL25kernel_set_permuted_arrayILj256EfiEEvT1_PT0_PKS2_PKS1_
	.p2align	8
	.type	_ZN9rocsparseL25kernel_set_permuted_arrayILj256EfiEEvT1_PT0_PKS2_PKS1_,@function
_ZN9rocsparseL25kernel_set_permuted_arrayILj256EfiEEvT1_PT0_PKS2_PKS1_: ; @_ZN9rocsparseL25kernel_set_permuted_arrayILj256EfiEEvT1_PT0_PKS2_PKS1_
; %bb.0:
	s_clause 0x1
	s_load_b32 s2, s[0:1], 0x2c
	s_load_b32 s3, s[0:1], 0x0
	s_bfe_u32 s4, ttmp6, 0x4000c
	s_and_b32 s5, ttmp6, 15
	s_add_co_i32 s4, s4, 1
	s_getreg_b32 s6, hwreg(HW_REG_IB_STS2, 6, 4)
	s_mul_i32 s4, ttmp9, s4
	s_delay_alu instid0(SALU_CYCLE_1) | instskip(SKIP_4) | instid1(SALU_CYCLE_1)
	s_add_co_i32 s5, s5, s4
	s_wait_kmcnt 0x0
	s_and_b32 s2, s2, 0xffff
	s_cmp_eq_u32 s6, 0
	s_cselect_b32 s4, ttmp9, s5
	v_mad_u32 v0, s4, s2, v0
	s_mov_b32 s2, exec_lo
	s_delay_alu instid0(VALU_DEP_1)
	v_cmpx_gt_i32_e64 s3, v0
	s_cbranch_execz .LBB17_2
; %bb.1:
	s_clause 0x1
	s_load_b128 s[4:7], s[0:1], 0x8
	s_load_b64 s[2:3], s[0:1], 0x18
	s_wait_kmcnt 0x0
	s_clause 0x1
	global_load_b32 v1, v0, s[6:7] scale_offset
	global_load_b32 v2, v0, s[2:3] scale_offset
	s_wait_loadcnt 0x0
	global_store_b32 v2, v1, s[4:5] scale_offset
.LBB17_2:
	s_endpgm
	.section	.rodata,"a",@progbits
	.p2align	6, 0x0
	.amdhsa_kernel _ZN9rocsparseL25kernel_set_permuted_arrayILj256EfiEEvT1_PT0_PKS2_PKS1_
		.amdhsa_group_segment_fixed_size 0
		.amdhsa_private_segment_fixed_size 0
		.amdhsa_kernarg_size 288
		.amdhsa_user_sgpr_count 2
		.amdhsa_user_sgpr_dispatch_ptr 0
		.amdhsa_user_sgpr_queue_ptr 0
		.amdhsa_user_sgpr_kernarg_segment_ptr 1
		.amdhsa_user_sgpr_dispatch_id 0
		.amdhsa_user_sgpr_kernarg_preload_length 0
		.amdhsa_user_sgpr_kernarg_preload_offset 0
		.amdhsa_user_sgpr_private_segment_size 0
		.amdhsa_wavefront_size32 1
		.amdhsa_uses_dynamic_stack 0
		.amdhsa_enable_private_segment 0
		.amdhsa_system_sgpr_workgroup_id_x 1
		.amdhsa_system_sgpr_workgroup_id_y 0
		.amdhsa_system_sgpr_workgroup_id_z 0
		.amdhsa_system_sgpr_workgroup_info 0
		.amdhsa_system_vgpr_workitem_id 0
		.amdhsa_next_free_vgpr 3
		.amdhsa_next_free_sgpr 8
		.amdhsa_named_barrier_count 0
		.amdhsa_reserve_vcc 0
		.amdhsa_float_round_mode_32 0
		.amdhsa_float_round_mode_16_64 0
		.amdhsa_float_denorm_mode_32 3
		.amdhsa_float_denorm_mode_16_64 3
		.amdhsa_fp16_overflow 0
		.amdhsa_memory_ordered 1
		.amdhsa_forward_progress 1
		.amdhsa_inst_pref_size 2
		.amdhsa_round_robin_scheduling 0
		.amdhsa_exception_fp_ieee_invalid_op 0
		.amdhsa_exception_fp_denorm_src 0
		.amdhsa_exception_fp_ieee_div_zero 0
		.amdhsa_exception_fp_ieee_overflow 0
		.amdhsa_exception_fp_ieee_underflow 0
		.amdhsa_exception_fp_ieee_inexact 0
		.amdhsa_exception_int_div_zero 0
	.end_amdhsa_kernel
	.section	.text._ZN9rocsparseL25kernel_set_permuted_arrayILj256EfiEEvT1_PT0_PKS2_PKS1_,"axG",@progbits,_ZN9rocsparseL25kernel_set_permuted_arrayILj256EfiEEvT1_PT0_PKS2_PKS1_,comdat
.Lfunc_end17:
	.size	_ZN9rocsparseL25kernel_set_permuted_arrayILj256EfiEEvT1_PT0_PKS2_PKS1_, .Lfunc_end17-_ZN9rocsparseL25kernel_set_permuted_arrayILj256EfiEEvT1_PT0_PKS2_PKS1_
                                        ; -- End function
	.set _ZN9rocsparseL25kernel_set_permuted_arrayILj256EfiEEvT1_PT0_PKS2_PKS1_.num_vgpr, 3
	.set _ZN9rocsparseL25kernel_set_permuted_arrayILj256EfiEEvT1_PT0_PKS2_PKS1_.num_agpr, 0
	.set _ZN9rocsparseL25kernel_set_permuted_arrayILj256EfiEEvT1_PT0_PKS2_PKS1_.numbered_sgpr, 8
	.set _ZN9rocsparseL25kernel_set_permuted_arrayILj256EfiEEvT1_PT0_PKS2_PKS1_.num_named_barrier, 0
	.set _ZN9rocsparseL25kernel_set_permuted_arrayILj256EfiEEvT1_PT0_PKS2_PKS1_.private_seg_size, 0
	.set _ZN9rocsparseL25kernel_set_permuted_arrayILj256EfiEEvT1_PT0_PKS2_PKS1_.uses_vcc, 0
	.set _ZN9rocsparseL25kernel_set_permuted_arrayILj256EfiEEvT1_PT0_PKS2_PKS1_.uses_flat_scratch, 0
	.set _ZN9rocsparseL25kernel_set_permuted_arrayILj256EfiEEvT1_PT0_PKS2_PKS1_.has_dyn_sized_stack, 0
	.set _ZN9rocsparseL25kernel_set_permuted_arrayILj256EfiEEvT1_PT0_PKS2_PKS1_.has_recursion, 0
	.set _ZN9rocsparseL25kernel_set_permuted_arrayILj256EfiEEvT1_PT0_PKS2_PKS1_.has_indirect_call, 0
	.section	.AMDGPU.csdata,"",@progbits
; Kernel info:
; codeLenInByte = 172
; TotalNumSgprs: 8
; NumVgprs: 3
; ScratchSize: 0
; MemoryBound: 0
; FloatMode: 240
; IeeeMode: 1
; LDSByteSize: 0 bytes/workgroup (compile time only)
; SGPRBlocks: 0
; VGPRBlocks: 0
; NumSGPRsForWavesPerEU: 8
; NumVGPRsForWavesPerEU: 3
; NamedBarCnt: 0
; Occupancy: 16
; WaveLimiterHint : 1
; COMPUTE_PGM_RSRC2:SCRATCH_EN: 0
; COMPUTE_PGM_RSRC2:USER_SGPR: 2
; COMPUTE_PGM_RSRC2:TRAP_HANDLER: 0
; COMPUTE_PGM_RSRC2:TGID_X_EN: 1
; COMPUTE_PGM_RSRC2:TGID_Y_EN: 0
; COMPUTE_PGM_RSRC2:TGID_Z_EN: 0
; COMPUTE_PGM_RSRC2:TIDIG_COMP_CNT: 0
	.section	.text._ZN9rocsparseL25kernel_set_identity_arrayILj256EdiEEvT1_PT0_,"axG",@progbits,_ZN9rocsparseL25kernel_set_identity_arrayILj256EdiEEvT1_PT0_,comdat
	.globl	_ZN9rocsparseL25kernel_set_identity_arrayILj256EdiEEvT1_PT0_ ; -- Begin function _ZN9rocsparseL25kernel_set_identity_arrayILj256EdiEEvT1_PT0_
	.p2align	8
	.type	_ZN9rocsparseL25kernel_set_identity_arrayILj256EdiEEvT1_PT0_,@function
_ZN9rocsparseL25kernel_set_identity_arrayILj256EdiEEvT1_PT0_: ; @_ZN9rocsparseL25kernel_set_identity_arrayILj256EdiEEvT1_PT0_
; %bb.0:
	s_clause 0x1
	s_load_b32 s2, s[0:1], 0x1c
	s_load_b32 s3, s[0:1], 0x0
	s_bfe_u32 s4, ttmp6, 0x4000c
	s_and_b32 s5, ttmp6, 15
	s_add_co_i32 s4, s4, 1
	s_getreg_b32 s6, hwreg(HW_REG_IB_STS2, 6, 4)
	s_mul_i32 s4, ttmp9, s4
	s_delay_alu instid0(SALU_CYCLE_1) | instskip(SKIP_4) | instid1(SALU_CYCLE_1)
	s_add_co_i32 s5, s5, s4
	s_wait_kmcnt 0x0
	s_and_b32 s2, s2, 0xffff
	s_cmp_eq_u32 s6, 0
	s_cselect_b32 s4, ttmp9, s5
	v_mad_u32 v0, s4, s2, v0
	s_mov_b32 s2, exec_lo
	s_delay_alu instid0(VALU_DEP_1)
	v_cmpx_gt_i32_e64 s3, v0
	s_cbranch_execz .LBB18_2
; %bb.1:
	s_load_b64 s[0:1], s[0:1], 0x8
	v_mov_b64_e32 v[2:3], 1.0
	s_wait_kmcnt 0x0
	global_store_b64 v0, v[2:3], s[0:1] scale_offset
.LBB18_2:
	s_endpgm
	.section	.rodata,"a",@progbits
	.p2align	6, 0x0
	.amdhsa_kernel _ZN9rocsparseL25kernel_set_identity_arrayILj256EdiEEvT1_PT0_
		.amdhsa_group_segment_fixed_size 0
		.amdhsa_private_segment_fixed_size 0
		.amdhsa_kernarg_size 272
		.amdhsa_user_sgpr_count 2
		.amdhsa_user_sgpr_dispatch_ptr 0
		.amdhsa_user_sgpr_queue_ptr 0
		.amdhsa_user_sgpr_kernarg_segment_ptr 1
		.amdhsa_user_sgpr_dispatch_id 0
		.amdhsa_user_sgpr_kernarg_preload_length 0
		.amdhsa_user_sgpr_kernarg_preload_offset 0
		.amdhsa_user_sgpr_private_segment_size 0
		.amdhsa_wavefront_size32 1
		.amdhsa_uses_dynamic_stack 0
		.amdhsa_enable_private_segment 0
		.amdhsa_system_sgpr_workgroup_id_x 1
		.amdhsa_system_sgpr_workgroup_id_y 0
		.amdhsa_system_sgpr_workgroup_id_z 0
		.amdhsa_system_sgpr_workgroup_info 0
		.amdhsa_system_vgpr_workitem_id 0
		.amdhsa_next_free_vgpr 4
		.amdhsa_next_free_sgpr 7
		.amdhsa_named_barrier_count 0
		.amdhsa_reserve_vcc 0
		.amdhsa_float_round_mode_32 0
		.amdhsa_float_round_mode_16_64 0
		.amdhsa_float_denorm_mode_32 3
		.amdhsa_float_denorm_mode_16_64 3
		.amdhsa_fp16_overflow 0
		.amdhsa_memory_ordered 1
		.amdhsa_forward_progress 1
		.amdhsa_inst_pref_size 2
		.amdhsa_round_robin_scheduling 0
		.amdhsa_exception_fp_ieee_invalid_op 0
		.amdhsa_exception_fp_denorm_src 0
		.amdhsa_exception_fp_ieee_div_zero 0
		.amdhsa_exception_fp_ieee_overflow 0
		.amdhsa_exception_fp_ieee_underflow 0
		.amdhsa_exception_fp_ieee_inexact 0
		.amdhsa_exception_int_div_zero 0
	.end_amdhsa_kernel
	.section	.text._ZN9rocsparseL25kernel_set_identity_arrayILj256EdiEEvT1_PT0_,"axG",@progbits,_ZN9rocsparseL25kernel_set_identity_arrayILj256EdiEEvT1_PT0_,comdat
.Lfunc_end18:
	.size	_ZN9rocsparseL25kernel_set_identity_arrayILj256EdiEEvT1_PT0_, .Lfunc_end18-_ZN9rocsparseL25kernel_set_identity_arrayILj256EdiEEvT1_PT0_
                                        ; -- End function
	.set _ZN9rocsparseL25kernel_set_identity_arrayILj256EdiEEvT1_PT0_.num_vgpr, 4
	.set _ZN9rocsparseL25kernel_set_identity_arrayILj256EdiEEvT1_PT0_.num_agpr, 0
	.set _ZN9rocsparseL25kernel_set_identity_arrayILj256EdiEEvT1_PT0_.numbered_sgpr, 7
	.set _ZN9rocsparseL25kernel_set_identity_arrayILj256EdiEEvT1_PT0_.num_named_barrier, 0
	.set _ZN9rocsparseL25kernel_set_identity_arrayILj256EdiEEvT1_PT0_.private_seg_size, 0
	.set _ZN9rocsparseL25kernel_set_identity_arrayILj256EdiEEvT1_PT0_.uses_vcc, 0
	.set _ZN9rocsparseL25kernel_set_identity_arrayILj256EdiEEvT1_PT0_.uses_flat_scratch, 0
	.set _ZN9rocsparseL25kernel_set_identity_arrayILj256EdiEEvT1_PT0_.has_dyn_sized_stack, 0
	.set _ZN9rocsparseL25kernel_set_identity_arrayILj256EdiEEvT1_PT0_.has_recursion, 0
	.set _ZN9rocsparseL25kernel_set_identity_arrayILj256EdiEEvT1_PT0_.has_indirect_call, 0
	.section	.AMDGPU.csdata,"",@progbits
; Kernel info:
; codeLenInByte = 132
; TotalNumSgprs: 7
; NumVgprs: 4
; ScratchSize: 0
; MemoryBound: 0
; FloatMode: 240
; IeeeMode: 1
; LDSByteSize: 0 bytes/workgroup (compile time only)
; SGPRBlocks: 0
; VGPRBlocks: 0
; NumSGPRsForWavesPerEU: 7
; NumVGPRsForWavesPerEU: 4
; NamedBarCnt: 0
; Occupancy: 16
; WaveLimiterHint : 0
; COMPUTE_PGM_RSRC2:SCRATCH_EN: 0
; COMPUTE_PGM_RSRC2:USER_SGPR: 2
; COMPUTE_PGM_RSRC2:TRAP_HANDLER: 0
; COMPUTE_PGM_RSRC2:TGID_X_EN: 1
; COMPUTE_PGM_RSRC2:TGID_Y_EN: 0
; COMPUTE_PGM_RSRC2:TGID_Z_EN: 0
; COMPUTE_PGM_RSRC2:TIDIG_COMP_CNT: 0
	.section	.text._ZN9rocsparseL25kernel_get_permuted_arrayILj256EdiEEvT1_PKT0_PS2_PKS1_,"axG",@progbits,_ZN9rocsparseL25kernel_get_permuted_arrayILj256EdiEEvT1_PKT0_PS2_PKS1_,comdat
	.globl	_ZN9rocsparseL25kernel_get_permuted_arrayILj256EdiEEvT1_PKT0_PS2_PKS1_ ; -- Begin function _ZN9rocsparseL25kernel_get_permuted_arrayILj256EdiEEvT1_PKT0_PS2_PKS1_
	.p2align	8
	.type	_ZN9rocsparseL25kernel_get_permuted_arrayILj256EdiEEvT1_PKT0_PS2_PKS1_,@function
_ZN9rocsparseL25kernel_get_permuted_arrayILj256EdiEEvT1_PKT0_PS2_PKS1_: ; @_ZN9rocsparseL25kernel_get_permuted_arrayILj256EdiEEvT1_PKT0_PS2_PKS1_
; %bb.0:
	s_clause 0x1
	s_load_b32 s2, s[0:1], 0x2c
	s_load_b32 s3, s[0:1], 0x0
	s_bfe_u32 s4, ttmp6, 0x4000c
	s_and_b32 s5, ttmp6, 15
	s_add_co_i32 s4, s4, 1
	s_getreg_b32 s6, hwreg(HW_REG_IB_STS2, 6, 4)
	s_mul_i32 s4, ttmp9, s4
	s_delay_alu instid0(SALU_CYCLE_1) | instskip(SKIP_4) | instid1(SALU_CYCLE_1)
	s_add_co_i32 s5, s5, s4
	s_wait_kmcnt 0x0
	s_and_b32 s2, s2, 0xffff
	s_cmp_eq_u32 s6, 0
	s_cselect_b32 s4, ttmp9, s5
	v_mad_u32 v0, s4, s2, v0
	s_mov_b32 s2, exec_lo
	s_delay_alu instid0(VALU_DEP_1)
	v_cmpx_gt_i32_e64 s3, v0
	s_cbranch_execz .LBB19_2
; %bb.1:
	s_clause 0x1
	s_load_b64 s[2:3], s[0:1], 0x18
	s_load_b128 s[4:7], s[0:1], 0x8
	s_wait_kmcnt 0x0
	global_load_b32 v1, v0, s[2:3] scale_offset
	s_wait_loadcnt 0x0
	global_load_b64 v[2:3], v1, s[4:5] scale_offset
	s_wait_loadcnt 0x0
	global_store_b64 v0, v[2:3], s[6:7] scale_offset
.LBB19_2:
	s_endpgm
	.section	.rodata,"a",@progbits
	.p2align	6, 0x0
	.amdhsa_kernel _ZN9rocsparseL25kernel_get_permuted_arrayILj256EdiEEvT1_PKT0_PS2_PKS1_
		.amdhsa_group_segment_fixed_size 0
		.amdhsa_private_segment_fixed_size 0
		.amdhsa_kernarg_size 288
		.amdhsa_user_sgpr_count 2
		.amdhsa_user_sgpr_dispatch_ptr 0
		.amdhsa_user_sgpr_queue_ptr 0
		.amdhsa_user_sgpr_kernarg_segment_ptr 1
		.amdhsa_user_sgpr_dispatch_id 0
		.amdhsa_user_sgpr_kernarg_preload_length 0
		.amdhsa_user_sgpr_kernarg_preload_offset 0
		.amdhsa_user_sgpr_private_segment_size 0
		.amdhsa_wavefront_size32 1
		.amdhsa_uses_dynamic_stack 0
		.amdhsa_enable_private_segment 0
		.amdhsa_system_sgpr_workgroup_id_x 1
		.amdhsa_system_sgpr_workgroup_id_y 0
		.amdhsa_system_sgpr_workgroup_id_z 0
		.amdhsa_system_sgpr_workgroup_info 0
		.amdhsa_system_vgpr_workitem_id 0
		.amdhsa_next_free_vgpr 4
		.amdhsa_next_free_sgpr 8
		.amdhsa_named_barrier_count 0
		.amdhsa_reserve_vcc 0
		.amdhsa_float_round_mode_32 0
		.amdhsa_float_round_mode_16_64 0
		.amdhsa_float_denorm_mode_32 3
		.amdhsa_float_denorm_mode_16_64 3
		.amdhsa_fp16_overflow 0
		.amdhsa_memory_ordered 1
		.amdhsa_forward_progress 1
		.amdhsa_inst_pref_size 2
		.amdhsa_round_robin_scheduling 0
		.amdhsa_exception_fp_ieee_invalid_op 0
		.amdhsa_exception_fp_denorm_src 0
		.amdhsa_exception_fp_ieee_div_zero 0
		.amdhsa_exception_fp_ieee_overflow 0
		.amdhsa_exception_fp_ieee_underflow 0
		.amdhsa_exception_fp_ieee_inexact 0
		.amdhsa_exception_int_div_zero 0
	.end_amdhsa_kernel
	.section	.text._ZN9rocsparseL25kernel_get_permuted_arrayILj256EdiEEvT1_PKT0_PS2_PKS1_,"axG",@progbits,_ZN9rocsparseL25kernel_get_permuted_arrayILj256EdiEEvT1_PKT0_PS2_PKS1_,comdat
.Lfunc_end19:
	.size	_ZN9rocsparseL25kernel_get_permuted_arrayILj256EdiEEvT1_PKT0_PS2_PKS1_, .Lfunc_end19-_ZN9rocsparseL25kernel_get_permuted_arrayILj256EdiEEvT1_PKT0_PS2_PKS1_
                                        ; -- End function
	.set _ZN9rocsparseL25kernel_get_permuted_arrayILj256EdiEEvT1_PKT0_PS2_PKS1_.num_vgpr, 4
	.set _ZN9rocsparseL25kernel_get_permuted_arrayILj256EdiEEvT1_PKT0_PS2_PKS1_.num_agpr, 0
	.set _ZN9rocsparseL25kernel_get_permuted_arrayILj256EdiEEvT1_PKT0_PS2_PKS1_.numbered_sgpr, 8
	.set _ZN9rocsparseL25kernel_get_permuted_arrayILj256EdiEEvT1_PKT0_PS2_PKS1_.num_named_barrier, 0
	.set _ZN9rocsparseL25kernel_get_permuted_arrayILj256EdiEEvT1_PKT0_PS2_PKS1_.private_seg_size, 0
	.set _ZN9rocsparseL25kernel_get_permuted_arrayILj256EdiEEvT1_PKT0_PS2_PKS1_.uses_vcc, 0
	.set _ZN9rocsparseL25kernel_get_permuted_arrayILj256EdiEEvT1_PKT0_PS2_PKS1_.uses_flat_scratch, 0
	.set _ZN9rocsparseL25kernel_get_permuted_arrayILj256EdiEEvT1_PKT0_PS2_PKS1_.has_dyn_sized_stack, 0
	.set _ZN9rocsparseL25kernel_get_permuted_arrayILj256EdiEEvT1_PKT0_PS2_PKS1_.has_recursion, 0
	.set _ZN9rocsparseL25kernel_get_permuted_arrayILj256EdiEEvT1_PKT0_PS2_PKS1_.has_indirect_call, 0
	.section	.AMDGPU.csdata,"",@progbits
; Kernel info:
; codeLenInByte = 172
; TotalNumSgprs: 8
; NumVgprs: 4
; ScratchSize: 0
; MemoryBound: 0
; FloatMode: 240
; IeeeMode: 1
; LDSByteSize: 0 bytes/workgroup (compile time only)
; SGPRBlocks: 0
; VGPRBlocks: 0
; NumSGPRsForWavesPerEU: 8
; NumVGPRsForWavesPerEU: 4
; NamedBarCnt: 0
; Occupancy: 16
; WaveLimiterHint : 1
; COMPUTE_PGM_RSRC2:SCRATCH_EN: 0
; COMPUTE_PGM_RSRC2:USER_SGPR: 2
; COMPUTE_PGM_RSRC2:TRAP_HANDLER: 0
; COMPUTE_PGM_RSRC2:TGID_X_EN: 1
; COMPUTE_PGM_RSRC2:TGID_Y_EN: 0
; COMPUTE_PGM_RSRC2:TGID_Z_EN: 0
; COMPUTE_PGM_RSRC2:TIDIG_COMP_CNT: 0
	.section	.text._ZN9rocsparseL25kernel_set_permuted_arrayILj256EdiEEvT1_PT0_PKS2_PKS1_,"axG",@progbits,_ZN9rocsparseL25kernel_set_permuted_arrayILj256EdiEEvT1_PT0_PKS2_PKS1_,comdat
	.globl	_ZN9rocsparseL25kernel_set_permuted_arrayILj256EdiEEvT1_PT0_PKS2_PKS1_ ; -- Begin function _ZN9rocsparseL25kernel_set_permuted_arrayILj256EdiEEvT1_PT0_PKS2_PKS1_
	.p2align	8
	.type	_ZN9rocsparseL25kernel_set_permuted_arrayILj256EdiEEvT1_PT0_PKS2_PKS1_,@function
_ZN9rocsparseL25kernel_set_permuted_arrayILj256EdiEEvT1_PT0_PKS2_PKS1_: ; @_ZN9rocsparseL25kernel_set_permuted_arrayILj256EdiEEvT1_PT0_PKS2_PKS1_
; %bb.0:
	s_clause 0x1
	s_load_b32 s2, s[0:1], 0x2c
	s_load_b32 s3, s[0:1], 0x0
	s_bfe_u32 s4, ttmp6, 0x4000c
	s_and_b32 s5, ttmp6, 15
	s_add_co_i32 s4, s4, 1
	s_getreg_b32 s6, hwreg(HW_REG_IB_STS2, 6, 4)
	s_mul_i32 s4, ttmp9, s4
	s_delay_alu instid0(SALU_CYCLE_1) | instskip(SKIP_4) | instid1(SALU_CYCLE_1)
	s_add_co_i32 s5, s5, s4
	s_wait_kmcnt 0x0
	s_and_b32 s2, s2, 0xffff
	s_cmp_eq_u32 s6, 0
	s_cselect_b32 s4, ttmp9, s5
	v_mad_u32 v0, s4, s2, v0
	s_mov_b32 s2, exec_lo
	s_delay_alu instid0(VALU_DEP_1)
	v_cmpx_gt_i32_e64 s3, v0
	s_cbranch_execz .LBB20_2
; %bb.1:
	s_clause 0x1
	s_load_b128 s[4:7], s[0:1], 0x8
	s_load_b64 s[2:3], s[0:1], 0x18
	s_wait_kmcnt 0x0
	s_clause 0x1
	global_load_b64 v[2:3], v0, s[6:7] scale_offset
	global_load_b32 v1, v0, s[2:3] scale_offset
	s_wait_loadcnt 0x0
	global_store_b64 v1, v[2:3], s[4:5] scale_offset
.LBB20_2:
	s_endpgm
	.section	.rodata,"a",@progbits
	.p2align	6, 0x0
	.amdhsa_kernel _ZN9rocsparseL25kernel_set_permuted_arrayILj256EdiEEvT1_PT0_PKS2_PKS1_
		.amdhsa_group_segment_fixed_size 0
		.amdhsa_private_segment_fixed_size 0
		.amdhsa_kernarg_size 288
		.amdhsa_user_sgpr_count 2
		.amdhsa_user_sgpr_dispatch_ptr 0
		.amdhsa_user_sgpr_queue_ptr 0
		.amdhsa_user_sgpr_kernarg_segment_ptr 1
		.amdhsa_user_sgpr_dispatch_id 0
		.amdhsa_user_sgpr_kernarg_preload_length 0
		.amdhsa_user_sgpr_kernarg_preload_offset 0
		.amdhsa_user_sgpr_private_segment_size 0
		.amdhsa_wavefront_size32 1
		.amdhsa_uses_dynamic_stack 0
		.amdhsa_enable_private_segment 0
		.amdhsa_system_sgpr_workgroup_id_x 1
		.amdhsa_system_sgpr_workgroup_id_y 0
		.amdhsa_system_sgpr_workgroup_id_z 0
		.amdhsa_system_sgpr_workgroup_info 0
		.amdhsa_system_vgpr_workitem_id 0
		.amdhsa_next_free_vgpr 4
		.amdhsa_next_free_sgpr 8
		.amdhsa_named_barrier_count 0
		.amdhsa_reserve_vcc 0
		.amdhsa_float_round_mode_32 0
		.amdhsa_float_round_mode_16_64 0
		.amdhsa_float_denorm_mode_32 3
		.amdhsa_float_denorm_mode_16_64 3
		.amdhsa_fp16_overflow 0
		.amdhsa_memory_ordered 1
		.amdhsa_forward_progress 1
		.amdhsa_inst_pref_size 2
		.amdhsa_round_robin_scheduling 0
		.amdhsa_exception_fp_ieee_invalid_op 0
		.amdhsa_exception_fp_denorm_src 0
		.amdhsa_exception_fp_ieee_div_zero 0
		.amdhsa_exception_fp_ieee_overflow 0
		.amdhsa_exception_fp_ieee_underflow 0
		.amdhsa_exception_fp_ieee_inexact 0
		.amdhsa_exception_int_div_zero 0
	.end_amdhsa_kernel
	.section	.text._ZN9rocsparseL25kernel_set_permuted_arrayILj256EdiEEvT1_PT0_PKS2_PKS1_,"axG",@progbits,_ZN9rocsparseL25kernel_set_permuted_arrayILj256EdiEEvT1_PT0_PKS2_PKS1_,comdat
.Lfunc_end20:
	.size	_ZN9rocsparseL25kernel_set_permuted_arrayILj256EdiEEvT1_PT0_PKS2_PKS1_, .Lfunc_end20-_ZN9rocsparseL25kernel_set_permuted_arrayILj256EdiEEvT1_PT0_PKS2_PKS1_
                                        ; -- End function
	.set _ZN9rocsparseL25kernel_set_permuted_arrayILj256EdiEEvT1_PT0_PKS2_PKS1_.num_vgpr, 4
	.set _ZN9rocsparseL25kernel_set_permuted_arrayILj256EdiEEvT1_PT0_PKS2_PKS1_.num_agpr, 0
	.set _ZN9rocsparseL25kernel_set_permuted_arrayILj256EdiEEvT1_PT0_PKS2_PKS1_.numbered_sgpr, 8
	.set _ZN9rocsparseL25kernel_set_permuted_arrayILj256EdiEEvT1_PT0_PKS2_PKS1_.num_named_barrier, 0
	.set _ZN9rocsparseL25kernel_set_permuted_arrayILj256EdiEEvT1_PT0_PKS2_PKS1_.private_seg_size, 0
	.set _ZN9rocsparseL25kernel_set_permuted_arrayILj256EdiEEvT1_PT0_PKS2_PKS1_.uses_vcc, 0
	.set _ZN9rocsparseL25kernel_set_permuted_arrayILj256EdiEEvT1_PT0_PKS2_PKS1_.uses_flat_scratch, 0
	.set _ZN9rocsparseL25kernel_set_permuted_arrayILj256EdiEEvT1_PT0_PKS2_PKS1_.has_dyn_sized_stack, 0
	.set _ZN9rocsparseL25kernel_set_permuted_arrayILj256EdiEEvT1_PT0_PKS2_PKS1_.has_recursion, 0
	.set _ZN9rocsparseL25kernel_set_permuted_arrayILj256EdiEEvT1_PT0_PKS2_PKS1_.has_indirect_call, 0
	.section	.AMDGPU.csdata,"",@progbits
; Kernel info:
; codeLenInByte = 172
; TotalNumSgprs: 8
; NumVgprs: 4
; ScratchSize: 0
; MemoryBound: 0
; FloatMode: 240
; IeeeMode: 1
; LDSByteSize: 0 bytes/workgroup (compile time only)
; SGPRBlocks: 0
; VGPRBlocks: 0
; NumSGPRsForWavesPerEU: 8
; NumVGPRsForWavesPerEU: 4
; NamedBarCnt: 0
; Occupancy: 16
; WaveLimiterHint : 1
; COMPUTE_PGM_RSRC2:SCRATCH_EN: 0
; COMPUTE_PGM_RSRC2:USER_SGPR: 2
; COMPUTE_PGM_RSRC2:TRAP_HANDLER: 0
; COMPUTE_PGM_RSRC2:TGID_X_EN: 1
; COMPUTE_PGM_RSRC2:TGID_Y_EN: 0
; COMPUTE_PGM_RSRC2:TGID_Z_EN: 0
; COMPUTE_PGM_RSRC2:TIDIG_COMP_CNT: 0
	.section	.text._ZN9rocsparseL25kernel_set_identity_arrayILj256E21rocsparse_complex_numIfEiEEvT1_PT0_,"axG",@progbits,_ZN9rocsparseL25kernel_set_identity_arrayILj256E21rocsparse_complex_numIfEiEEvT1_PT0_,comdat
	.globl	_ZN9rocsparseL25kernel_set_identity_arrayILj256E21rocsparse_complex_numIfEiEEvT1_PT0_ ; -- Begin function _ZN9rocsparseL25kernel_set_identity_arrayILj256E21rocsparse_complex_numIfEiEEvT1_PT0_
	.p2align	8
	.type	_ZN9rocsparseL25kernel_set_identity_arrayILj256E21rocsparse_complex_numIfEiEEvT1_PT0_,@function
_ZN9rocsparseL25kernel_set_identity_arrayILj256E21rocsparse_complex_numIfEiEEvT1_PT0_: ; @_ZN9rocsparseL25kernel_set_identity_arrayILj256E21rocsparse_complex_numIfEiEEvT1_PT0_
; %bb.0:
	s_clause 0x1
	s_load_b32 s2, s[0:1], 0x1c
	s_load_b32 s3, s[0:1], 0x0
	s_bfe_u32 s4, ttmp6, 0x4000c
	s_and_b32 s5, ttmp6, 15
	s_add_co_i32 s4, s4, 1
	s_getreg_b32 s6, hwreg(HW_REG_IB_STS2, 6, 4)
	s_mul_i32 s4, ttmp9, s4
	s_delay_alu instid0(SALU_CYCLE_1) | instskip(SKIP_4) | instid1(SALU_CYCLE_1)
	s_add_co_i32 s5, s5, s4
	s_wait_kmcnt 0x0
	s_and_b32 s2, s2, 0xffff
	s_cmp_eq_u32 s6, 0
	s_cselect_b32 s4, ttmp9, s5
	v_mad_u32 v0, s4, s2, v0
	s_mov_b32 s2, exec_lo
	s_delay_alu instid0(VALU_DEP_1)
	v_cmpx_gt_i32_e64 s3, v0
	s_cbranch_execz .LBB21_2
; %bb.1:
	s_load_b64 s[0:1], s[0:1], 0x8
	v_mov_b64_e32 v[2:3], 0x3f800000
	s_wait_kmcnt 0x0
	global_store_b64 v0, v[2:3], s[0:1] scale_offset
.LBB21_2:
	s_endpgm
	.section	.rodata,"a",@progbits
	.p2align	6, 0x0
	.amdhsa_kernel _ZN9rocsparseL25kernel_set_identity_arrayILj256E21rocsparse_complex_numIfEiEEvT1_PT0_
		.amdhsa_group_segment_fixed_size 0
		.amdhsa_private_segment_fixed_size 0
		.amdhsa_kernarg_size 272
		.amdhsa_user_sgpr_count 2
		.amdhsa_user_sgpr_dispatch_ptr 0
		.amdhsa_user_sgpr_queue_ptr 0
		.amdhsa_user_sgpr_kernarg_segment_ptr 1
		.amdhsa_user_sgpr_dispatch_id 0
		.amdhsa_user_sgpr_kernarg_preload_length 0
		.amdhsa_user_sgpr_kernarg_preload_offset 0
		.amdhsa_user_sgpr_private_segment_size 0
		.amdhsa_wavefront_size32 1
		.amdhsa_uses_dynamic_stack 0
		.amdhsa_enable_private_segment 0
		.amdhsa_system_sgpr_workgroup_id_x 1
		.amdhsa_system_sgpr_workgroup_id_y 0
		.amdhsa_system_sgpr_workgroup_id_z 0
		.amdhsa_system_sgpr_workgroup_info 0
		.amdhsa_system_vgpr_workitem_id 0
		.amdhsa_next_free_vgpr 4
		.amdhsa_next_free_sgpr 7
		.amdhsa_named_barrier_count 0
		.amdhsa_reserve_vcc 0
		.amdhsa_float_round_mode_32 0
		.amdhsa_float_round_mode_16_64 0
		.amdhsa_float_denorm_mode_32 3
		.amdhsa_float_denorm_mode_16_64 3
		.amdhsa_fp16_overflow 0
		.amdhsa_memory_ordered 1
		.amdhsa_forward_progress 1
		.amdhsa_inst_pref_size 2
		.amdhsa_round_robin_scheduling 0
		.amdhsa_exception_fp_ieee_invalid_op 0
		.amdhsa_exception_fp_denorm_src 0
		.amdhsa_exception_fp_ieee_div_zero 0
		.amdhsa_exception_fp_ieee_overflow 0
		.amdhsa_exception_fp_ieee_underflow 0
		.amdhsa_exception_fp_ieee_inexact 0
		.amdhsa_exception_int_div_zero 0
	.end_amdhsa_kernel
	.section	.text._ZN9rocsparseL25kernel_set_identity_arrayILj256E21rocsparse_complex_numIfEiEEvT1_PT0_,"axG",@progbits,_ZN9rocsparseL25kernel_set_identity_arrayILj256E21rocsparse_complex_numIfEiEEvT1_PT0_,comdat
.Lfunc_end21:
	.size	_ZN9rocsparseL25kernel_set_identity_arrayILj256E21rocsparse_complex_numIfEiEEvT1_PT0_, .Lfunc_end21-_ZN9rocsparseL25kernel_set_identity_arrayILj256E21rocsparse_complex_numIfEiEEvT1_PT0_
                                        ; -- End function
	.set _ZN9rocsparseL25kernel_set_identity_arrayILj256E21rocsparse_complex_numIfEiEEvT1_PT0_.num_vgpr, 4
	.set _ZN9rocsparseL25kernel_set_identity_arrayILj256E21rocsparse_complex_numIfEiEEvT1_PT0_.num_agpr, 0
	.set _ZN9rocsparseL25kernel_set_identity_arrayILj256E21rocsparse_complex_numIfEiEEvT1_PT0_.numbered_sgpr, 7
	.set _ZN9rocsparseL25kernel_set_identity_arrayILj256E21rocsparse_complex_numIfEiEEvT1_PT0_.num_named_barrier, 0
	.set _ZN9rocsparseL25kernel_set_identity_arrayILj256E21rocsparse_complex_numIfEiEEvT1_PT0_.private_seg_size, 0
	.set _ZN9rocsparseL25kernel_set_identity_arrayILj256E21rocsparse_complex_numIfEiEEvT1_PT0_.uses_vcc, 0
	.set _ZN9rocsparseL25kernel_set_identity_arrayILj256E21rocsparse_complex_numIfEiEEvT1_PT0_.uses_flat_scratch, 0
	.set _ZN9rocsparseL25kernel_set_identity_arrayILj256E21rocsparse_complex_numIfEiEEvT1_PT0_.has_dyn_sized_stack, 0
	.set _ZN9rocsparseL25kernel_set_identity_arrayILj256E21rocsparse_complex_numIfEiEEvT1_PT0_.has_recursion, 0
	.set _ZN9rocsparseL25kernel_set_identity_arrayILj256E21rocsparse_complex_numIfEiEEvT1_PT0_.has_indirect_call, 0
	.section	.AMDGPU.csdata,"",@progbits
; Kernel info:
; codeLenInByte = 136
; TotalNumSgprs: 7
; NumVgprs: 4
; ScratchSize: 0
; MemoryBound: 0
; FloatMode: 240
; IeeeMode: 1
; LDSByteSize: 0 bytes/workgroup (compile time only)
; SGPRBlocks: 0
; VGPRBlocks: 0
; NumSGPRsForWavesPerEU: 7
; NumVGPRsForWavesPerEU: 4
; NamedBarCnt: 0
; Occupancy: 16
; WaveLimiterHint : 0
; COMPUTE_PGM_RSRC2:SCRATCH_EN: 0
; COMPUTE_PGM_RSRC2:USER_SGPR: 2
; COMPUTE_PGM_RSRC2:TRAP_HANDLER: 0
; COMPUTE_PGM_RSRC2:TGID_X_EN: 1
; COMPUTE_PGM_RSRC2:TGID_Y_EN: 0
; COMPUTE_PGM_RSRC2:TGID_Z_EN: 0
; COMPUTE_PGM_RSRC2:TIDIG_COMP_CNT: 0
	.section	.text._ZN9rocsparseL25kernel_get_permuted_arrayILj256E21rocsparse_complex_numIfEiEEvT1_PKT0_PS4_PKS3_,"axG",@progbits,_ZN9rocsparseL25kernel_get_permuted_arrayILj256E21rocsparse_complex_numIfEiEEvT1_PKT0_PS4_PKS3_,comdat
	.globl	_ZN9rocsparseL25kernel_get_permuted_arrayILj256E21rocsparse_complex_numIfEiEEvT1_PKT0_PS4_PKS3_ ; -- Begin function _ZN9rocsparseL25kernel_get_permuted_arrayILj256E21rocsparse_complex_numIfEiEEvT1_PKT0_PS4_PKS3_
	.p2align	8
	.type	_ZN9rocsparseL25kernel_get_permuted_arrayILj256E21rocsparse_complex_numIfEiEEvT1_PKT0_PS4_PKS3_,@function
_ZN9rocsparseL25kernel_get_permuted_arrayILj256E21rocsparse_complex_numIfEiEEvT1_PKT0_PS4_PKS3_: ; @_ZN9rocsparseL25kernel_get_permuted_arrayILj256E21rocsparse_complex_numIfEiEEvT1_PKT0_PS4_PKS3_
; %bb.0:
	s_clause 0x1
	s_load_b32 s2, s[0:1], 0x2c
	s_load_b32 s3, s[0:1], 0x0
	s_bfe_u32 s4, ttmp6, 0x4000c
	s_and_b32 s5, ttmp6, 15
	s_add_co_i32 s4, s4, 1
	s_getreg_b32 s6, hwreg(HW_REG_IB_STS2, 6, 4)
	s_mul_i32 s4, ttmp9, s4
	s_delay_alu instid0(SALU_CYCLE_1) | instskip(SKIP_4) | instid1(SALU_CYCLE_1)
	s_add_co_i32 s5, s5, s4
	s_wait_kmcnt 0x0
	s_and_b32 s2, s2, 0xffff
	s_cmp_eq_u32 s6, 0
	s_cselect_b32 s4, ttmp9, s5
	v_mad_u32 v0, s4, s2, v0
	s_mov_b32 s2, exec_lo
	s_delay_alu instid0(VALU_DEP_1)
	v_cmpx_gt_i32_e64 s3, v0
	s_cbranch_execz .LBB22_2
; %bb.1:
	s_clause 0x1
	s_load_b64 s[2:3], s[0:1], 0x18
	s_load_b128 s[4:7], s[0:1], 0x8
	s_wait_kmcnt 0x0
	global_load_b32 v1, v0, s[2:3] scale_offset
	s_wait_loadcnt 0x0
	global_load_b64 v[2:3], v1, s[4:5] scale_offset
	s_wait_loadcnt 0x0
	global_store_b64 v0, v[2:3], s[6:7] scale_offset
.LBB22_2:
	s_endpgm
	.section	.rodata,"a",@progbits
	.p2align	6, 0x0
	.amdhsa_kernel _ZN9rocsparseL25kernel_get_permuted_arrayILj256E21rocsparse_complex_numIfEiEEvT1_PKT0_PS4_PKS3_
		.amdhsa_group_segment_fixed_size 0
		.amdhsa_private_segment_fixed_size 0
		.amdhsa_kernarg_size 288
		.amdhsa_user_sgpr_count 2
		.amdhsa_user_sgpr_dispatch_ptr 0
		.amdhsa_user_sgpr_queue_ptr 0
		.amdhsa_user_sgpr_kernarg_segment_ptr 1
		.amdhsa_user_sgpr_dispatch_id 0
		.amdhsa_user_sgpr_kernarg_preload_length 0
		.amdhsa_user_sgpr_kernarg_preload_offset 0
		.amdhsa_user_sgpr_private_segment_size 0
		.amdhsa_wavefront_size32 1
		.amdhsa_uses_dynamic_stack 0
		.amdhsa_enable_private_segment 0
		.amdhsa_system_sgpr_workgroup_id_x 1
		.amdhsa_system_sgpr_workgroup_id_y 0
		.amdhsa_system_sgpr_workgroup_id_z 0
		.amdhsa_system_sgpr_workgroup_info 0
		.amdhsa_system_vgpr_workitem_id 0
		.amdhsa_next_free_vgpr 4
		.amdhsa_next_free_sgpr 8
		.amdhsa_named_barrier_count 0
		.amdhsa_reserve_vcc 0
		.amdhsa_float_round_mode_32 0
		.amdhsa_float_round_mode_16_64 0
		.amdhsa_float_denorm_mode_32 3
		.amdhsa_float_denorm_mode_16_64 3
		.amdhsa_fp16_overflow 0
		.amdhsa_memory_ordered 1
		.amdhsa_forward_progress 1
		.amdhsa_inst_pref_size 2
		.amdhsa_round_robin_scheduling 0
		.amdhsa_exception_fp_ieee_invalid_op 0
		.amdhsa_exception_fp_denorm_src 0
		.amdhsa_exception_fp_ieee_div_zero 0
		.amdhsa_exception_fp_ieee_overflow 0
		.amdhsa_exception_fp_ieee_underflow 0
		.amdhsa_exception_fp_ieee_inexact 0
		.amdhsa_exception_int_div_zero 0
	.end_amdhsa_kernel
	.section	.text._ZN9rocsparseL25kernel_get_permuted_arrayILj256E21rocsparse_complex_numIfEiEEvT1_PKT0_PS4_PKS3_,"axG",@progbits,_ZN9rocsparseL25kernel_get_permuted_arrayILj256E21rocsparse_complex_numIfEiEEvT1_PKT0_PS4_PKS3_,comdat
.Lfunc_end22:
	.size	_ZN9rocsparseL25kernel_get_permuted_arrayILj256E21rocsparse_complex_numIfEiEEvT1_PKT0_PS4_PKS3_, .Lfunc_end22-_ZN9rocsparseL25kernel_get_permuted_arrayILj256E21rocsparse_complex_numIfEiEEvT1_PKT0_PS4_PKS3_
                                        ; -- End function
	.set _ZN9rocsparseL25kernel_get_permuted_arrayILj256E21rocsparse_complex_numIfEiEEvT1_PKT0_PS4_PKS3_.num_vgpr, 4
	.set _ZN9rocsparseL25kernel_get_permuted_arrayILj256E21rocsparse_complex_numIfEiEEvT1_PKT0_PS4_PKS3_.num_agpr, 0
	.set _ZN9rocsparseL25kernel_get_permuted_arrayILj256E21rocsparse_complex_numIfEiEEvT1_PKT0_PS4_PKS3_.numbered_sgpr, 8
	.set _ZN9rocsparseL25kernel_get_permuted_arrayILj256E21rocsparse_complex_numIfEiEEvT1_PKT0_PS4_PKS3_.num_named_barrier, 0
	.set _ZN9rocsparseL25kernel_get_permuted_arrayILj256E21rocsparse_complex_numIfEiEEvT1_PKT0_PS4_PKS3_.private_seg_size, 0
	.set _ZN9rocsparseL25kernel_get_permuted_arrayILj256E21rocsparse_complex_numIfEiEEvT1_PKT0_PS4_PKS3_.uses_vcc, 0
	.set _ZN9rocsparseL25kernel_get_permuted_arrayILj256E21rocsparse_complex_numIfEiEEvT1_PKT0_PS4_PKS3_.uses_flat_scratch, 0
	.set _ZN9rocsparseL25kernel_get_permuted_arrayILj256E21rocsparse_complex_numIfEiEEvT1_PKT0_PS4_PKS3_.has_dyn_sized_stack, 0
	.set _ZN9rocsparseL25kernel_get_permuted_arrayILj256E21rocsparse_complex_numIfEiEEvT1_PKT0_PS4_PKS3_.has_recursion, 0
	.set _ZN9rocsparseL25kernel_get_permuted_arrayILj256E21rocsparse_complex_numIfEiEEvT1_PKT0_PS4_PKS3_.has_indirect_call, 0
	.section	.AMDGPU.csdata,"",@progbits
; Kernel info:
; codeLenInByte = 172
; TotalNumSgprs: 8
; NumVgprs: 4
; ScratchSize: 0
; MemoryBound: 0
; FloatMode: 240
; IeeeMode: 1
; LDSByteSize: 0 bytes/workgroup (compile time only)
; SGPRBlocks: 0
; VGPRBlocks: 0
; NumSGPRsForWavesPerEU: 8
; NumVGPRsForWavesPerEU: 4
; NamedBarCnt: 0
; Occupancy: 16
; WaveLimiterHint : 1
; COMPUTE_PGM_RSRC2:SCRATCH_EN: 0
; COMPUTE_PGM_RSRC2:USER_SGPR: 2
; COMPUTE_PGM_RSRC2:TRAP_HANDLER: 0
; COMPUTE_PGM_RSRC2:TGID_X_EN: 1
; COMPUTE_PGM_RSRC2:TGID_Y_EN: 0
; COMPUTE_PGM_RSRC2:TGID_Z_EN: 0
; COMPUTE_PGM_RSRC2:TIDIG_COMP_CNT: 0
	.section	.text._ZN9rocsparseL25kernel_set_permuted_arrayILj256E21rocsparse_complex_numIfEiEEvT1_PT0_PKS4_PKS3_,"axG",@progbits,_ZN9rocsparseL25kernel_set_permuted_arrayILj256E21rocsparse_complex_numIfEiEEvT1_PT0_PKS4_PKS3_,comdat
	.globl	_ZN9rocsparseL25kernel_set_permuted_arrayILj256E21rocsparse_complex_numIfEiEEvT1_PT0_PKS4_PKS3_ ; -- Begin function _ZN9rocsparseL25kernel_set_permuted_arrayILj256E21rocsparse_complex_numIfEiEEvT1_PT0_PKS4_PKS3_
	.p2align	8
	.type	_ZN9rocsparseL25kernel_set_permuted_arrayILj256E21rocsparse_complex_numIfEiEEvT1_PT0_PKS4_PKS3_,@function
_ZN9rocsparseL25kernel_set_permuted_arrayILj256E21rocsparse_complex_numIfEiEEvT1_PT0_PKS4_PKS3_: ; @_ZN9rocsparseL25kernel_set_permuted_arrayILj256E21rocsparse_complex_numIfEiEEvT1_PT0_PKS4_PKS3_
; %bb.0:
	s_clause 0x1
	s_load_b32 s2, s[0:1], 0x2c
	s_load_b32 s3, s[0:1], 0x0
	s_bfe_u32 s4, ttmp6, 0x4000c
	s_and_b32 s5, ttmp6, 15
	s_add_co_i32 s4, s4, 1
	s_getreg_b32 s6, hwreg(HW_REG_IB_STS2, 6, 4)
	s_mul_i32 s4, ttmp9, s4
	s_delay_alu instid0(SALU_CYCLE_1) | instskip(SKIP_4) | instid1(SALU_CYCLE_1)
	s_add_co_i32 s5, s5, s4
	s_wait_kmcnt 0x0
	s_and_b32 s2, s2, 0xffff
	s_cmp_eq_u32 s6, 0
	s_cselect_b32 s4, ttmp9, s5
	v_mad_u32 v0, s4, s2, v0
	s_mov_b32 s2, exec_lo
	s_delay_alu instid0(VALU_DEP_1)
	v_cmpx_gt_i32_e64 s3, v0
	s_cbranch_execz .LBB23_2
; %bb.1:
	s_clause 0x1
	s_load_b64 s[2:3], s[0:1], 0x18
	s_load_b128 s[4:7], s[0:1], 0x8
	s_wait_kmcnt 0x0
	s_clause 0x1
	global_load_b32 v1, v0, s[2:3] scale_offset
	global_load_b64 v[2:3], v0, s[6:7] scale_offset
	s_wait_loadcnt 0x0
	global_store_b64 v1, v[2:3], s[4:5] scale_offset
.LBB23_2:
	s_endpgm
	.section	.rodata,"a",@progbits
	.p2align	6, 0x0
	.amdhsa_kernel _ZN9rocsparseL25kernel_set_permuted_arrayILj256E21rocsparse_complex_numIfEiEEvT1_PT0_PKS4_PKS3_
		.amdhsa_group_segment_fixed_size 0
		.amdhsa_private_segment_fixed_size 0
		.amdhsa_kernarg_size 288
		.amdhsa_user_sgpr_count 2
		.amdhsa_user_sgpr_dispatch_ptr 0
		.amdhsa_user_sgpr_queue_ptr 0
		.amdhsa_user_sgpr_kernarg_segment_ptr 1
		.amdhsa_user_sgpr_dispatch_id 0
		.amdhsa_user_sgpr_kernarg_preload_length 0
		.amdhsa_user_sgpr_kernarg_preload_offset 0
		.amdhsa_user_sgpr_private_segment_size 0
		.amdhsa_wavefront_size32 1
		.amdhsa_uses_dynamic_stack 0
		.amdhsa_enable_private_segment 0
		.amdhsa_system_sgpr_workgroup_id_x 1
		.amdhsa_system_sgpr_workgroup_id_y 0
		.amdhsa_system_sgpr_workgroup_id_z 0
		.amdhsa_system_sgpr_workgroup_info 0
		.amdhsa_system_vgpr_workitem_id 0
		.amdhsa_next_free_vgpr 4
		.amdhsa_next_free_sgpr 8
		.amdhsa_named_barrier_count 0
		.amdhsa_reserve_vcc 0
		.amdhsa_float_round_mode_32 0
		.amdhsa_float_round_mode_16_64 0
		.amdhsa_float_denorm_mode_32 3
		.amdhsa_float_denorm_mode_16_64 3
		.amdhsa_fp16_overflow 0
		.amdhsa_memory_ordered 1
		.amdhsa_forward_progress 1
		.amdhsa_inst_pref_size 2
		.amdhsa_round_robin_scheduling 0
		.amdhsa_exception_fp_ieee_invalid_op 0
		.amdhsa_exception_fp_denorm_src 0
		.amdhsa_exception_fp_ieee_div_zero 0
		.amdhsa_exception_fp_ieee_overflow 0
		.amdhsa_exception_fp_ieee_underflow 0
		.amdhsa_exception_fp_ieee_inexact 0
		.amdhsa_exception_int_div_zero 0
	.end_amdhsa_kernel
	.section	.text._ZN9rocsparseL25kernel_set_permuted_arrayILj256E21rocsparse_complex_numIfEiEEvT1_PT0_PKS4_PKS3_,"axG",@progbits,_ZN9rocsparseL25kernel_set_permuted_arrayILj256E21rocsparse_complex_numIfEiEEvT1_PT0_PKS4_PKS3_,comdat
.Lfunc_end23:
	.size	_ZN9rocsparseL25kernel_set_permuted_arrayILj256E21rocsparse_complex_numIfEiEEvT1_PT0_PKS4_PKS3_, .Lfunc_end23-_ZN9rocsparseL25kernel_set_permuted_arrayILj256E21rocsparse_complex_numIfEiEEvT1_PT0_PKS4_PKS3_
                                        ; -- End function
	.set _ZN9rocsparseL25kernel_set_permuted_arrayILj256E21rocsparse_complex_numIfEiEEvT1_PT0_PKS4_PKS3_.num_vgpr, 4
	.set _ZN9rocsparseL25kernel_set_permuted_arrayILj256E21rocsparse_complex_numIfEiEEvT1_PT0_PKS4_PKS3_.num_agpr, 0
	.set _ZN9rocsparseL25kernel_set_permuted_arrayILj256E21rocsparse_complex_numIfEiEEvT1_PT0_PKS4_PKS3_.numbered_sgpr, 8
	.set _ZN9rocsparseL25kernel_set_permuted_arrayILj256E21rocsparse_complex_numIfEiEEvT1_PT0_PKS4_PKS3_.num_named_barrier, 0
	.set _ZN9rocsparseL25kernel_set_permuted_arrayILj256E21rocsparse_complex_numIfEiEEvT1_PT0_PKS4_PKS3_.private_seg_size, 0
	.set _ZN9rocsparseL25kernel_set_permuted_arrayILj256E21rocsparse_complex_numIfEiEEvT1_PT0_PKS4_PKS3_.uses_vcc, 0
	.set _ZN9rocsparseL25kernel_set_permuted_arrayILj256E21rocsparse_complex_numIfEiEEvT1_PT0_PKS4_PKS3_.uses_flat_scratch, 0
	.set _ZN9rocsparseL25kernel_set_permuted_arrayILj256E21rocsparse_complex_numIfEiEEvT1_PT0_PKS4_PKS3_.has_dyn_sized_stack, 0
	.set _ZN9rocsparseL25kernel_set_permuted_arrayILj256E21rocsparse_complex_numIfEiEEvT1_PT0_PKS4_PKS3_.has_recursion, 0
	.set _ZN9rocsparseL25kernel_set_permuted_arrayILj256E21rocsparse_complex_numIfEiEEvT1_PT0_PKS4_PKS3_.has_indirect_call, 0
	.section	.AMDGPU.csdata,"",@progbits
; Kernel info:
; codeLenInByte = 172
; TotalNumSgprs: 8
; NumVgprs: 4
; ScratchSize: 0
; MemoryBound: 0
; FloatMode: 240
; IeeeMode: 1
; LDSByteSize: 0 bytes/workgroup (compile time only)
; SGPRBlocks: 0
; VGPRBlocks: 0
; NumSGPRsForWavesPerEU: 8
; NumVGPRsForWavesPerEU: 4
; NamedBarCnt: 0
; Occupancy: 16
; WaveLimiterHint : 1
; COMPUTE_PGM_RSRC2:SCRATCH_EN: 0
; COMPUTE_PGM_RSRC2:USER_SGPR: 2
; COMPUTE_PGM_RSRC2:TRAP_HANDLER: 0
; COMPUTE_PGM_RSRC2:TGID_X_EN: 1
; COMPUTE_PGM_RSRC2:TGID_Y_EN: 0
; COMPUTE_PGM_RSRC2:TGID_Z_EN: 0
; COMPUTE_PGM_RSRC2:TIDIG_COMP_CNT: 0
	.section	.text._ZN9rocsparseL25kernel_set_identity_arrayILj256E21rocsparse_complex_numIdEiEEvT1_PT0_,"axG",@progbits,_ZN9rocsparseL25kernel_set_identity_arrayILj256E21rocsparse_complex_numIdEiEEvT1_PT0_,comdat
	.globl	_ZN9rocsparseL25kernel_set_identity_arrayILj256E21rocsparse_complex_numIdEiEEvT1_PT0_ ; -- Begin function _ZN9rocsparseL25kernel_set_identity_arrayILj256E21rocsparse_complex_numIdEiEEvT1_PT0_
	.p2align	8
	.type	_ZN9rocsparseL25kernel_set_identity_arrayILj256E21rocsparse_complex_numIdEiEEvT1_PT0_,@function
_ZN9rocsparseL25kernel_set_identity_arrayILj256E21rocsparse_complex_numIdEiEEvT1_PT0_: ; @_ZN9rocsparseL25kernel_set_identity_arrayILj256E21rocsparse_complex_numIdEiEEvT1_PT0_
; %bb.0:
	s_clause 0x1
	s_load_b32 s2, s[0:1], 0x1c
	s_load_b32 s3, s[0:1], 0x0
	s_bfe_u32 s4, ttmp6, 0x4000c
	s_and_b32 s5, ttmp6, 15
	s_add_co_i32 s4, s4, 1
	s_getreg_b32 s6, hwreg(HW_REG_IB_STS2, 6, 4)
	s_mul_i32 s4, ttmp9, s4
	s_delay_alu instid0(SALU_CYCLE_1) | instskip(SKIP_4) | instid1(SALU_CYCLE_1)
	s_add_co_i32 s5, s5, s4
	s_wait_kmcnt 0x0
	s_and_b32 s2, s2, 0xffff
	s_cmp_eq_u32 s6, 0
	s_cselect_b32 s4, ttmp9, s5
	v_mad_u32 v0, s4, s2, v0
	s_mov_b32 s2, exec_lo
	s_delay_alu instid0(VALU_DEP_1)
	v_cmpx_gt_i32_e64 s3, v0
	s_cbranch_execz .LBB24_2
; %bb.1:
	s_load_b64 s[0:1], s[0:1], 0x8
	v_dual_mov_b32 v2, 0 :: v_dual_mov_b32 v3, 0x3ff00000
	s_delay_alu instid0(VALU_DEP_1)
	v_dual_mov_b32 v4, v2 :: v_dual_mov_b32 v5, v2
	s_wait_kmcnt 0x0
	global_store_b128 v0, v[2:5], s[0:1] scale_offset
.LBB24_2:
	s_endpgm
	.section	.rodata,"a",@progbits
	.p2align	6, 0x0
	.amdhsa_kernel _ZN9rocsparseL25kernel_set_identity_arrayILj256E21rocsparse_complex_numIdEiEEvT1_PT0_
		.amdhsa_group_segment_fixed_size 0
		.amdhsa_private_segment_fixed_size 0
		.amdhsa_kernarg_size 272
		.amdhsa_user_sgpr_count 2
		.amdhsa_user_sgpr_dispatch_ptr 0
		.amdhsa_user_sgpr_queue_ptr 0
		.amdhsa_user_sgpr_kernarg_segment_ptr 1
		.amdhsa_user_sgpr_dispatch_id 0
		.amdhsa_user_sgpr_kernarg_preload_length 0
		.amdhsa_user_sgpr_kernarg_preload_offset 0
		.amdhsa_user_sgpr_private_segment_size 0
		.amdhsa_wavefront_size32 1
		.amdhsa_uses_dynamic_stack 0
		.amdhsa_enable_private_segment 0
		.amdhsa_system_sgpr_workgroup_id_x 1
		.amdhsa_system_sgpr_workgroup_id_y 0
		.amdhsa_system_sgpr_workgroup_id_z 0
		.amdhsa_system_sgpr_workgroup_info 0
		.amdhsa_system_vgpr_workitem_id 0
		.amdhsa_next_free_vgpr 6
		.amdhsa_next_free_sgpr 7
		.amdhsa_named_barrier_count 0
		.amdhsa_reserve_vcc 0
		.amdhsa_float_round_mode_32 0
		.amdhsa_float_round_mode_16_64 0
		.amdhsa_float_denorm_mode_32 3
		.amdhsa_float_denorm_mode_16_64 3
		.amdhsa_fp16_overflow 0
		.amdhsa_memory_ordered 1
		.amdhsa_forward_progress 1
		.amdhsa_inst_pref_size 2
		.amdhsa_round_robin_scheduling 0
		.amdhsa_exception_fp_ieee_invalid_op 0
		.amdhsa_exception_fp_denorm_src 0
		.amdhsa_exception_fp_ieee_div_zero 0
		.amdhsa_exception_fp_ieee_overflow 0
		.amdhsa_exception_fp_ieee_underflow 0
		.amdhsa_exception_fp_ieee_inexact 0
		.amdhsa_exception_int_div_zero 0
	.end_amdhsa_kernel
	.section	.text._ZN9rocsparseL25kernel_set_identity_arrayILj256E21rocsparse_complex_numIdEiEEvT1_PT0_,"axG",@progbits,_ZN9rocsparseL25kernel_set_identity_arrayILj256E21rocsparse_complex_numIdEiEEvT1_PT0_,comdat
.Lfunc_end24:
	.size	_ZN9rocsparseL25kernel_set_identity_arrayILj256E21rocsparse_complex_numIdEiEEvT1_PT0_, .Lfunc_end24-_ZN9rocsparseL25kernel_set_identity_arrayILj256E21rocsparse_complex_numIdEiEEvT1_PT0_
                                        ; -- End function
	.set _ZN9rocsparseL25kernel_set_identity_arrayILj256E21rocsparse_complex_numIdEiEEvT1_PT0_.num_vgpr, 6
	.set _ZN9rocsparseL25kernel_set_identity_arrayILj256E21rocsparse_complex_numIdEiEEvT1_PT0_.num_agpr, 0
	.set _ZN9rocsparseL25kernel_set_identity_arrayILj256E21rocsparse_complex_numIdEiEEvT1_PT0_.numbered_sgpr, 7
	.set _ZN9rocsparseL25kernel_set_identity_arrayILj256E21rocsparse_complex_numIdEiEEvT1_PT0_.num_named_barrier, 0
	.set _ZN9rocsparseL25kernel_set_identity_arrayILj256E21rocsparse_complex_numIdEiEEvT1_PT0_.private_seg_size, 0
	.set _ZN9rocsparseL25kernel_set_identity_arrayILj256E21rocsparse_complex_numIdEiEEvT1_PT0_.uses_vcc, 0
	.set _ZN9rocsparseL25kernel_set_identity_arrayILj256E21rocsparse_complex_numIdEiEEvT1_PT0_.uses_flat_scratch, 0
	.set _ZN9rocsparseL25kernel_set_identity_arrayILj256E21rocsparse_complex_numIdEiEEvT1_PT0_.has_dyn_sized_stack, 0
	.set _ZN9rocsparseL25kernel_set_identity_arrayILj256E21rocsparse_complex_numIdEiEEvT1_PT0_.has_recursion, 0
	.set _ZN9rocsparseL25kernel_set_identity_arrayILj256E21rocsparse_complex_numIdEiEEvT1_PT0_.has_indirect_call, 0
	.section	.AMDGPU.csdata,"",@progbits
; Kernel info:
; codeLenInByte = 152
; TotalNumSgprs: 7
; NumVgprs: 6
; ScratchSize: 0
; MemoryBound: 0
; FloatMode: 240
; IeeeMode: 1
; LDSByteSize: 0 bytes/workgroup (compile time only)
; SGPRBlocks: 0
; VGPRBlocks: 0
; NumSGPRsForWavesPerEU: 7
; NumVGPRsForWavesPerEU: 6
; NamedBarCnt: 0
; Occupancy: 16
; WaveLimiterHint : 0
; COMPUTE_PGM_RSRC2:SCRATCH_EN: 0
; COMPUTE_PGM_RSRC2:USER_SGPR: 2
; COMPUTE_PGM_RSRC2:TRAP_HANDLER: 0
; COMPUTE_PGM_RSRC2:TGID_X_EN: 1
; COMPUTE_PGM_RSRC2:TGID_Y_EN: 0
; COMPUTE_PGM_RSRC2:TGID_Z_EN: 0
; COMPUTE_PGM_RSRC2:TIDIG_COMP_CNT: 0
	.section	.text._ZN9rocsparseL25kernel_get_permuted_arrayILj256E21rocsparse_complex_numIdEiEEvT1_PKT0_PS4_PKS3_,"axG",@progbits,_ZN9rocsparseL25kernel_get_permuted_arrayILj256E21rocsparse_complex_numIdEiEEvT1_PKT0_PS4_PKS3_,comdat
	.globl	_ZN9rocsparseL25kernel_get_permuted_arrayILj256E21rocsparse_complex_numIdEiEEvT1_PKT0_PS4_PKS3_ ; -- Begin function _ZN9rocsparseL25kernel_get_permuted_arrayILj256E21rocsparse_complex_numIdEiEEvT1_PKT0_PS4_PKS3_
	.p2align	8
	.type	_ZN9rocsparseL25kernel_get_permuted_arrayILj256E21rocsparse_complex_numIdEiEEvT1_PKT0_PS4_PKS3_,@function
_ZN9rocsparseL25kernel_get_permuted_arrayILj256E21rocsparse_complex_numIdEiEEvT1_PKT0_PS4_PKS3_: ; @_ZN9rocsparseL25kernel_get_permuted_arrayILj256E21rocsparse_complex_numIdEiEEvT1_PKT0_PS4_PKS3_
; %bb.0:
	s_clause 0x1
	s_load_b32 s2, s[0:1], 0x2c
	s_load_b32 s3, s[0:1], 0x0
	s_bfe_u32 s4, ttmp6, 0x4000c
	s_and_b32 s5, ttmp6, 15
	s_add_co_i32 s4, s4, 1
	s_getreg_b32 s6, hwreg(HW_REG_IB_STS2, 6, 4)
	s_mul_i32 s4, ttmp9, s4
	s_delay_alu instid0(SALU_CYCLE_1) | instskip(SKIP_4) | instid1(SALU_CYCLE_1)
	s_add_co_i32 s5, s5, s4
	s_wait_kmcnt 0x0
	s_and_b32 s2, s2, 0xffff
	s_cmp_eq_u32 s6, 0
	s_cselect_b32 s4, ttmp9, s5
	v_mad_u32 v0, s4, s2, v0
	s_mov_b32 s2, exec_lo
	s_delay_alu instid0(VALU_DEP_1)
	v_cmpx_gt_i32_e64 s3, v0
	s_cbranch_execz .LBB25_2
; %bb.1:
	s_clause 0x1
	s_load_b64 s[2:3], s[0:1], 0x18
	s_load_b128 s[4:7], s[0:1], 0x8
	s_wait_kmcnt 0x0
	global_load_b32 v1, v0, s[2:3] scale_offset
	s_wait_loadcnt 0x0
	global_load_b128 v[2:5], v1, s[4:5] scale_offset
	s_wait_loadcnt 0x0
	global_store_b128 v0, v[2:5], s[6:7] scale_offset
.LBB25_2:
	s_endpgm
	.section	.rodata,"a",@progbits
	.p2align	6, 0x0
	.amdhsa_kernel _ZN9rocsparseL25kernel_get_permuted_arrayILj256E21rocsparse_complex_numIdEiEEvT1_PKT0_PS4_PKS3_
		.amdhsa_group_segment_fixed_size 0
		.amdhsa_private_segment_fixed_size 0
		.amdhsa_kernarg_size 288
		.amdhsa_user_sgpr_count 2
		.amdhsa_user_sgpr_dispatch_ptr 0
		.amdhsa_user_sgpr_queue_ptr 0
		.amdhsa_user_sgpr_kernarg_segment_ptr 1
		.amdhsa_user_sgpr_dispatch_id 0
		.amdhsa_user_sgpr_kernarg_preload_length 0
		.amdhsa_user_sgpr_kernarg_preload_offset 0
		.amdhsa_user_sgpr_private_segment_size 0
		.amdhsa_wavefront_size32 1
		.amdhsa_uses_dynamic_stack 0
		.amdhsa_enable_private_segment 0
		.amdhsa_system_sgpr_workgroup_id_x 1
		.amdhsa_system_sgpr_workgroup_id_y 0
		.amdhsa_system_sgpr_workgroup_id_z 0
		.amdhsa_system_sgpr_workgroup_info 0
		.amdhsa_system_vgpr_workitem_id 0
		.amdhsa_next_free_vgpr 6
		.amdhsa_next_free_sgpr 8
		.amdhsa_named_barrier_count 0
		.amdhsa_reserve_vcc 0
		.amdhsa_float_round_mode_32 0
		.amdhsa_float_round_mode_16_64 0
		.amdhsa_float_denorm_mode_32 3
		.amdhsa_float_denorm_mode_16_64 3
		.amdhsa_fp16_overflow 0
		.amdhsa_memory_ordered 1
		.amdhsa_forward_progress 1
		.amdhsa_inst_pref_size 2
		.amdhsa_round_robin_scheduling 0
		.amdhsa_exception_fp_ieee_invalid_op 0
		.amdhsa_exception_fp_denorm_src 0
		.amdhsa_exception_fp_ieee_div_zero 0
		.amdhsa_exception_fp_ieee_overflow 0
		.amdhsa_exception_fp_ieee_underflow 0
		.amdhsa_exception_fp_ieee_inexact 0
		.amdhsa_exception_int_div_zero 0
	.end_amdhsa_kernel
	.section	.text._ZN9rocsparseL25kernel_get_permuted_arrayILj256E21rocsparse_complex_numIdEiEEvT1_PKT0_PS4_PKS3_,"axG",@progbits,_ZN9rocsparseL25kernel_get_permuted_arrayILj256E21rocsparse_complex_numIdEiEEvT1_PKT0_PS4_PKS3_,comdat
.Lfunc_end25:
	.size	_ZN9rocsparseL25kernel_get_permuted_arrayILj256E21rocsparse_complex_numIdEiEEvT1_PKT0_PS4_PKS3_, .Lfunc_end25-_ZN9rocsparseL25kernel_get_permuted_arrayILj256E21rocsparse_complex_numIdEiEEvT1_PKT0_PS4_PKS3_
                                        ; -- End function
	.set _ZN9rocsparseL25kernel_get_permuted_arrayILj256E21rocsparse_complex_numIdEiEEvT1_PKT0_PS4_PKS3_.num_vgpr, 6
	.set _ZN9rocsparseL25kernel_get_permuted_arrayILj256E21rocsparse_complex_numIdEiEEvT1_PKT0_PS4_PKS3_.num_agpr, 0
	.set _ZN9rocsparseL25kernel_get_permuted_arrayILj256E21rocsparse_complex_numIdEiEEvT1_PKT0_PS4_PKS3_.numbered_sgpr, 8
	.set _ZN9rocsparseL25kernel_get_permuted_arrayILj256E21rocsparse_complex_numIdEiEEvT1_PKT0_PS4_PKS3_.num_named_barrier, 0
	.set _ZN9rocsparseL25kernel_get_permuted_arrayILj256E21rocsparse_complex_numIdEiEEvT1_PKT0_PS4_PKS3_.private_seg_size, 0
	.set _ZN9rocsparseL25kernel_get_permuted_arrayILj256E21rocsparse_complex_numIdEiEEvT1_PKT0_PS4_PKS3_.uses_vcc, 0
	.set _ZN9rocsparseL25kernel_get_permuted_arrayILj256E21rocsparse_complex_numIdEiEEvT1_PKT0_PS4_PKS3_.uses_flat_scratch, 0
	.set _ZN9rocsparseL25kernel_get_permuted_arrayILj256E21rocsparse_complex_numIdEiEEvT1_PKT0_PS4_PKS3_.has_dyn_sized_stack, 0
	.set _ZN9rocsparseL25kernel_get_permuted_arrayILj256E21rocsparse_complex_numIdEiEEvT1_PKT0_PS4_PKS3_.has_recursion, 0
	.set _ZN9rocsparseL25kernel_get_permuted_arrayILj256E21rocsparse_complex_numIdEiEEvT1_PKT0_PS4_PKS3_.has_indirect_call, 0
	.section	.AMDGPU.csdata,"",@progbits
; Kernel info:
; codeLenInByte = 172
; TotalNumSgprs: 8
; NumVgprs: 6
; ScratchSize: 0
; MemoryBound: 0
; FloatMode: 240
; IeeeMode: 1
; LDSByteSize: 0 bytes/workgroup (compile time only)
; SGPRBlocks: 0
; VGPRBlocks: 0
; NumSGPRsForWavesPerEU: 8
; NumVGPRsForWavesPerEU: 6
; NamedBarCnt: 0
; Occupancy: 16
; WaveLimiterHint : 0
; COMPUTE_PGM_RSRC2:SCRATCH_EN: 0
; COMPUTE_PGM_RSRC2:USER_SGPR: 2
; COMPUTE_PGM_RSRC2:TRAP_HANDLER: 0
; COMPUTE_PGM_RSRC2:TGID_X_EN: 1
; COMPUTE_PGM_RSRC2:TGID_Y_EN: 0
; COMPUTE_PGM_RSRC2:TGID_Z_EN: 0
; COMPUTE_PGM_RSRC2:TIDIG_COMP_CNT: 0
	.section	.text._ZN9rocsparseL25kernel_set_permuted_arrayILj256E21rocsparse_complex_numIdEiEEvT1_PT0_PKS4_PKS3_,"axG",@progbits,_ZN9rocsparseL25kernel_set_permuted_arrayILj256E21rocsparse_complex_numIdEiEEvT1_PT0_PKS4_PKS3_,comdat
	.globl	_ZN9rocsparseL25kernel_set_permuted_arrayILj256E21rocsparse_complex_numIdEiEEvT1_PT0_PKS4_PKS3_ ; -- Begin function _ZN9rocsparseL25kernel_set_permuted_arrayILj256E21rocsparse_complex_numIdEiEEvT1_PT0_PKS4_PKS3_
	.p2align	8
	.type	_ZN9rocsparseL25kernel_set_permuted_arrayILj256E21rocsparse_complex_numIdEiEEvT1_PT0_PKS4_PKS3_,@function
_ZN9rocsparseL25kernel_set_permuted_arrayILj256E21rocsparse_complex_numIdEiEEvT1_PT0_PKS4_PKS3_: ; @_ZN9rocsparseL25kernel_set_permuted_arrayILj256E21rocsparse_complex_numIdEiEEvT1_PT0_PKS4_PKS3_
; %bb.0:
	s_clause 0x1
	s_load_b32 s2, s[0:1], 0x2c
	s_load_b32 s3, s[0:1], 0x0
	s_bfe_u32 s4, ttmp6, 0x4000c
	s_and_b32 s5, ttmp6, 15
	s_add_co_i32 s4, s4, 1
	s_getreg_b32 s6, hwreg(HW_REG_IB_STS2, 6, 4)
	s_mul_i32 s4, ttmp9, s4
	s_delay_alu instid0(SALU_CYCLE_1) | instskip(SKIP_4) | instid1(SALU_CYCLE_1)
	s_add_co_i32 s5, s5, s4
	s_wait_kmcnt 0x0
	s_and_b32 s2, s2, 0xffff
	s_cmp_eq_u32 s6, 0
	s_cselect_b32 s4, ttmp9, s5
	v_mad_u32 v0, s4, s2, v0
	s_mov_b32 s2, exec_lo
	s_delay_alu instid0(VALU_DEP_1)
	v_cmpx_gt_i32_e64 s3, v0
	s_cbranch_execz .LBB26_2
; %bb.1:
	s_clause 0x1
	s_load_b64 s[2:3], s[0:1], 0x18
	s_load_b128 s[4:7], s[0:1], 0x8
	s_wait_kmcnt 0x0
	s_clause 0x1
	global_load_b32 v1, v0, s[2:3] scale_offset
	global_load_b128 v[2:5], v0, s[6:7] scale_offset
	s_wait_loadcnt 0x0
	global_store_b128 v1, v[2:5], s[4:5] scale_offset
.LBB26_2:
	s_endpgm
	.section	.rodata,"a",@progbits
	.p2align	6, 0x0
	.amdhsa_kernel _ZN9rocsparseL25kernel_set_permuted_arrayILj256E21rocsparse_complex_numIdEiEEvT1_PT0_PKS4_PKS3_
		.amdhsa_group_segment_fixed_size 0
		.amdhsa_private_segment_fixed_size 0
		.amdhsa_kernarg_size 288
		.amdhsa_user_sgpr_count 2
		.amdhsa_user_sgpr_dispatch_ptr 0
		.amdhsa_user_sgpr_queue_ptr 0
		.amdhsa_user_sgpr_kernarg_segment_ptr 1
		.amdhsa_user_sgpr_dispatch_id 0
		.amdhsa_user_sgpr_kernarg_preload_length 0
		.amdhsa_user_sgpr_kernarg_preload_offset 0
		.amdhsa_user_sgpr_private_segment_size 0
		.amdhsa_wavefront_size32 1
		.amdhsa_uses_dynamic_stack 0
		.amdhsa_enable_private_segment 0
		.amdhsa_system_sgpr_workgroup_id_x 1
		.amdhsa_system_sgpr_workgroup_id_y 0
		.amdhsa_system_sgpr_workgroup_id_z 0
		.amdhsa_system_sgpr_workgroup_info 0
		.amdhsa_system_vgpr_workitem_id 0
		.amdhsa_next_free_vgpr 6
		.amdhsa_next_free_sgpr 8
		.amdhsa_named_barrier_count 0
		.amdhsa_reserve_vcc 0
		.amdhsa_float_round_mode_32 0
		.amdhsa_float_round_mode_16_64 0
		.amdhsa_float_denorm_mode_32 3
		.amdhsa_float_denorm_mode_16_64 3
		.amdhsa_fp16_overflow 0
		.amdhsa_memory_ordered 1
		.amdhsa_forward_progress 1
		.amdhsa_inst_pref_size 2
		.amdhsa_round_robin_scheduling 0
		.amdhsa_exception_fp_ieee_invalid_op 0
		.amdhsa_exception_fp_denorm_src 0
		.amdhsa_exception_fp_ieee_div_zero 0
		.amdhsa_exception_fp_ieee_overflow 0
		.amdhsa_exception_fp_ieee_underflow 0
		.amdhsa_exception_fp_ieee_inexact 0
		.amdhsa_exception_int_div_zero 0
	.end_amdhsa_kernel
	.section	.text._ZN9rocsparseL25kernel_set_permuted_arrayILj256E21rocsparse_complex_numIdEiEEvT1_PT0_PKS4_PKS3_,"axG",@progbits,_ZN9rocsparseL25kernel_set_permuted_arrayILj256E21rocsparse_complex_numIdEiEEvT1_PT0_PKS4_PKS3_,comdat
.Lfunc_end26:
	.size	_ZN9rocsparseL25kernel_set_permuted_arrayILj256E21rocsparse_complex_numIdEiEEvT1_PT0_PKS4_PKS3_, .Lfunc_end26-_ZN9rocsparseL25kernel_set_permuted_arrayILj256E21rocsparse_complex_numIdEiEEvT1_PT0_PKS4_PKS3_
                                        ; -- End function
	.set _ZN9rocsparseL25kernel_set_permuted_arrayILj256E21rocsparse_complex_numIdEiEEvT1_PT0_PKS4_PKS3_.num_vgpr, 6
	.set _ZN9rocsparseL25kernel_set_permuted_arrayILj256E21rocsparse_complex_numIdEiEEvT1_PT0_PKS4_PKS3_.num_agpr, 0
	.set _ZN9rocsparseL25kernel_set_permuted_arrayILj256E21rocsparse_complex_numIdEiEEvT1_PT0_PKS4_PKS3_.numbered_sgpr, 8
	.set _ZN9rocsparseL25kernel_set_permuted_arrayILj256E21rocsparse_complex_numIdEiEEvT1_PT0_PKS4_PKS3_.num_named_barrier, 0
	.set _ZN9rocsparseL25kernel_set_permuted_arrayILj256E21rocsparse_complex_numIdEiEEvT1_PT0_PKS4_PKS3_.private_seg_size, 0
	.set _ZN9rocsparseL25kernel_set_permuted_arrayILj256E21rocsparse_complex_numIdEiEEvT1_PT0_PKS4_PKS3_.uses_vcc, 0
	.set _ZN9rocsparseL25kernel_set_permuted_arrayILj256E21rocsparse_complex_numIdEiEEvT1_PT0_PKS4_PKS3_.uses_flat_scratch, 0
	.set _ZN9rocsparseL25kernel_set_permuted_arrayILj256E21rocsparse_complex_numIdEiEEvT1_PT0_PKS4_PKS3_.has_dyn_sized_stack, 0
	.set _ZN9rocsparseL25kernel_set_permuted_arrayILj256E21rocsparse_complex_numIdEiEEvT1_PT0_PKS4_PKS3_.has_recursion, 0
	.set _ZN9rocsparseL25kernel_set_permuted_arrayILj256E21rocsparse_complex_numIdEiEEvT1_PT0_PKS4_PKS3_.has_indirect_call, 0
	.section	.AMDGPU.csdata,"",@progbits
; Kernel info:
; codeLenInByte = 172
; TotalNumSgprs: 8
; NumVgprs: 6
; ScratchSize: 0
; MemoryBound: 0
; FloatMode: 240
; IeeeMode: 1
; LDSByteSize: 0 bytes/workgroup (compile time only)
; SGPRBlocks: 0
; VGPRBlocks: 0
; NumSGPRsForWavesPerEU: 8
; NumVGPRsForWavesPerEU: 6
; NamedBarCnt: 0
; Occupancy: 16
; WaveLimiterHint : 1
; COMPUTE_PGM_RSRC2:SCRATCH_EN: 0
; COMPUTE_PGM_RSRC2:USER_SGPR: 2
; COMPUTE_PGM_RSRC2:TRAP_HANDLER: 0
; COMPUTE_PGM_RSRC2:TGID_X_EN: 1
; COMPUTE_PGM_RSRC2:TGID_Y_EN: 0
; COMPUTE_PGM_RSRC2:TGID_Z_EN: 0
; COMPUTE_PGM_RSRC2:TIDIG_COMP_CNT: 0
	.section	.text._ZN9rocsparseL25kernel_set_identity_arrayILj512EfiEEvT1_PT0_,"axG",@progbits,_ZN9rocsparseL25kernel_set_identity_arrayILj512EfiEEvT1_PT0_,comdat
	.globl	_ZN9rocsparseL25kernel_set_identity_arrayILj512EfiEEvT1_PT0_ ; -- Begin function _ZN9rocsparseL25kernel_set_identity_arrayILj512EfiEEvT1_PT0_
	.p2align	8
	.type	_ZN9rocsparseL25kernel_set_identity_arrayILj512EfiEEvT1_PT0_,@function
_ZN9rocsparseL25kernel_set_identity_arrayILj512EfiEEvT1_PT0_: ; @_ZN9rocsparseL25kernel_set_identity_arrayILj512EfiEEvT1_PT0_
; %bb.0:
	s_clause 0x1
	s_load_b32 s2, s[0:1], 0x1c
	s_load_b32 s3, s[0:1], 0x0
	s_bfe_u32 s4, ttmp6, 0x4000c
	s_and_b32 s5, ttmp6, 15
	s_add_co_i32 s4, s4, 1
	s_getreg_b32 s6, hwreg(HW_REG_IB_STS2, 6, 4)
	s_mul_i32 s4, ttmp9, s4
	s_delay_alu instid0(SALU_CYCLE_1) | instskip(SKIP_4) | instid1(SALU_CYCLE_1)
	s_add_co_i32 s5, s5, s4
	s_wait_kmcnt 0x0
	s_and_b32 s2, s2, 0xffff
	s_cmp_eq_u32 s6, 0
	s_cselect_b32 s4, ttmp9, s5
	v_mad_u32 v0, s4, s2, v0
	s_mov_b32 s2, exec_lo
	s_delay_alu instid0(VALU_DEP_1)
	v_cmpx_gt_i32_e64 s3, v0
	s_cbranch_execz .LBB27_2
; %bb.1:
	s_load_b64 s[0:1], s[0:1], 0x8
	v_mov_b32_e32 v1, 1.0
	s_wait_kmcnt 0x0
	global_store_b32 v0, v1, s[0:1] scale_offset
.LBB27_2:
	s_endpgm
	.section	.rodata,"a",@progbits
	.p2align	6, 0x0
	.amdhsa_kernel _ZN9rocsparseL25kernel_set_identity_arrayILj512EfiEEvT1_PT0_
		.amdhsa_group_segment_fixed_size 0
		.amdhsa_private_segment_fixed_size 0
		.amdhsa_kernarg_size 272
		.amdhsa_user_sgpr_count 2
		.amdhsa_user_sgpr_dispatch_ptr 0
		.amdhsa_user_sgpr_queue_ptr 0
		.amdhsa_user_sgpr_kernarg_segment_ptr 1
		.amdhsa_user_sgpr_dispatch_id 0
		.amdhsa_user_sgpr_kernarg_preload_length 0
		.amdhsa_user_sgpr_kernarg_preload_offset 0
		.amdhsa_user_sgpr_private_segment_size 0
		.amdhsa_wavefront_size32 1
		.amdhsa_uses_dynamic_stack 0
		.amdhsa_enable_private_segment 0
		.amdhsa_system_sgpr_workgroup_id_x 1
		.amdhsa_system_sgpr_workgroup_id_y 0
		.amdhsa_system_sgpr_workgroup_id_z 0
		.amdhsa_system_sgpr_workgroup_info 0
		.amdhsa_system_vgpr_workitem_id 0
		.amdhsa_next_free_vgpr 2
		.amdhsa_next_free_sgpr 7
		.amdhsa_named_barrier_count 0
		.amdhsa_reserve_vcc 0
		.amdhsa_float_round_mode_32 0
		.amdhsa_float_round_mode_16_64 0
		.amdhsa_float_denorm_mode_32 3
		.amdhsa_float_denorm_mode_16_64 3
		.amdhsa_fp16_overflow 0
		.amdhsa_memory_ordered 1
		.amdhsa_forward_progress 1
		.amdhsa_inst_pref_size 2
		.amdhsa_round_robin_scheduling 0
		.amdhsa_exception_fp_ieee_invalid_op 0
		.amdhsa_exception_fp_denorm_src 0
		.amdhsa_exception_fp_ieee_div_zero 0
		.amdhsa_exception_fp_ieee_overflow 0
		.amdhsa_exception_fp_ieee_underflow 0
		.amdhsa_exception_fp_ieee_inexact 0
		.amdhsa_exception_int_div_zero 0
	.end_amdhsa_kernel
	.section	.text._ZN9rocsparseL25kernel_set_identity_arrayILj512EfiEEvT1_PT0_,"axG",@progbits,_ZN9rocsparseL25kernel_set_identity_arrayILj512EfiEEvT1_PT0_,comdat
.Lfunc_end27:
	.size	_ZN9rocsparseL25kernel_set_identity_arrayILj512EfiEEvT1_PT0_, .Lfunc_end27-_ZN9rocsparseL25kernel_set_identity_arrayILj512EfiEEvT1_PT0_
                                        ; -- End function
	.set _ZN9rocsparseL25kernel_set_identity_arrayILj512EfiEEvT1_PT0_.num_vgpr, 2
	.set _ZN9rocsparseL25kernel_set_identity_arrayILj512EfiEEvT1_PT0_.num_agpr, 0
	.set _ZN9rocsparseL25kernel_set_identity_arrayILj512EfiEEvT1_PT0_.numbered_sgpr, 7
	.set _ZN9rocsparseL25kernel_set_identity_arrayILj512EfiEEvT1_PT0_.num_named_barrier, 0
	.set _ZN9rocsparseL25kernel_set_identity_arrayILj512EfiEEvT1_PT0_.private_seg_size, 0
	.set _ZN9rocsparseL25kernel_set_identity_arrayILj512EfiEEvT1_PT0_.uses_vcc, 0
	.set _ZN9rocsparseL25kernel_set_identity_arrayILj512EfiEEvT1_PT0_.uses_flat_scratch, 0
	.set _ZN9rocsparseL25kernel_set_identity_arrayILj512EfiEEvT1_PT0_.has_dyn_sized_stack, 0
	.set _ZN9rocsparseL25kernel_set_identity_arrayILj512EfiEEvT1_PT0_.has_recursion, 0
	.set _ZN9rocsparseL25kernel_set_identity_arrayILj512EfiEEvT1_PT0_.has_indirect_call, 0
	.section	.AMDGPU.csdata,"",@progbits
; Kernel info:
; codeLenInByte = 132
; TotalNumSgprs: 7
; NumVgprs: 2
; ScratchSize: 0
; MemoryBound: 0
; FloatMode: 240
; IeeeMode: 1
; LDSByteSize: 0 bytes/workgroup (compile time only)
; SGPRBlocks: 0
; VGPRBlocks: 0
; NumSGPRsForWavesPerEU: 7
; NumVGPRsForWavesPerEU: 2
; NamedBarCnt: 0
; Occupancy: 16
; WaveLimiterHint : 0
; COMPUTE_PGM_RSRC2:SCRATCH_EN: 0
; COMPUTE_PGM_RSRC2:USER_SGPR: 2
; COMPUTE_PGM_RSRC2:TRAP_HANDLER: 0
; COMPUTE_PGM_RSRC2:TGID_X_EN: 1
; COMPUTE_PGM_RSRC2:TGID_Y_EN: 0
; COMPUTE_PGM_RSRC2:TGID_Z_EN: 0
; COMPUTE_PGM_RSRC2:TIDIG_COMP_CNT: 0
	.section	.text._ZN9rocsparseL25kernel_get_permuted_arrayILj512EfiEEvT1_PKT0_PS2_PKS1_,"axG",@progbits,_ZN9rocsparseL25kernel_get_permuted_arrayILj512EfiEEvT1_PKT0_PS2_PKS1_,comdat
	.globl	_ZN9rocsparseL25kernel_get_permuted_arrayILj512EfiEEvT1_PKT0_PS2_PKS1_ ; -- Begin function _ZN9rocsparseL25kernel_get_permuted_arrayILj512EfiEEvT1_PKT0_PS2_PKS1_
	.p2align	8
	.type	_ZN9rocsparseL25kernel_get_permuted_arrayILj512EfiEEvT1_PKT0_PS2_PKS1_,@function
_ZN9rocsparseL25kernel_get_permuted_arrayILj512EfiEEvT1_PKT0_PS2_PKS1_: ; @_ZN9rocsparseL25kernel_get_permuted_arrayILj512EfiEEvT1_PKT0_PS2_PKS1_
; %bb.0:
	s_clause 0x1
	s_load_b32 s2, s[0:1], 0x2c
	s_load_b32 s3, s[0:1], 0x0
	s_bfe_u32 s4, ttmp6, 0x4000c
	s_and_b32 s5, ttmp6, 15
	s_add_co_i32 s4, s4, 1
	s_getreg_b32 s6, hwreg(HW_REG_IB_STS2, 6, 4)
	s_mul_i32 s4, ttmp9, s4
	s_delay_alu instid0(SALU_CYCLE_1) | instskip(SKIP_4) | instid1(SALU_CYCLE_1)
	s_add_co_i32 s5, s5, s4
	s_wait_kmcnt 0x0
	s_and_b32 s2, s2, 0xffff
	s_cmp_eq_u32 s6, 0
	s_cselect_b32 s4, ttmp9, s5
	v_mad_u32 v0, s4, s2, v0
	s_mov_b32 s2, exec_lo
	s_delay_alu instid0(VALU_DEP_1)
	v_cmpx_gt_i32_e64 s3, v0
	s_cbranch_execz .LBB28_2
; %bb.1:
	s_clause 0x1
	s_load_b64 s[2:3], s[0:1], 0x18
	s_load_b128 s[4:7], s[0:1], 0x8
	s_wait_kmcnt 0x0
	global_load_b32 v1, v0, s[2:3] scale_offset
	s_wait_loadcnt 0x0
	global_load_b32 v1, v1, s[4:5] scale_offset
	s_wait_loadcnt 0x0
	global_store_b32 v0, v1, s[6:7] scale_offset
.LBB28_2:
	s_endpgm
	.section	.rodata,"a",@progbits
	.p2align	6, 0x0
	.amdhsa_kernel _ZN9rocsparseL25kernel_get_permuted_arrayILj512EfiEEvT1_PKT0_PS2_PKS1_
		.amdhsa_group_segment_fixed_size 0
		.amdhsa_private_segment_fixed_size 0
		.amdhsa_kernarg_size 288
		.amdhsa_user_sgpr_count 2
		.amdhsa_user_sgpr_dispatch_ptr 0
		.amdhsa_user_sgpr_queue_ptr 0
		.amdhsa_user_sgpr_kernarg_segment_ptr 1
		.amdhsa_user_sgpr_dispatch_id 0
		.amdhsa_user_sgpr_kernarg_preload_length 0
		.amdhsa_user_sgpr_kernarg_preload_offset 0
		.amdhsa_user_sgpr_private_segment_size 0
		.amdhsa_wavefront_size32 1
		.amdhsa_uses_dynamic_stack 0
		.amdhsa_enable_private_segment 0
		.amdhsa_system_sgpr_workgroup_id_x 1
		.amdhsa_system_sgpr_workgroup_id_y 0
		.amdhsa_system_sgpr_workgroup_id_z 0
		.amdhsa_system_sgpr_workgroup_info 0
		.amdhsa_system_vgpr_workitem_id 0
		.amdhsa_next_free_vgpr 2
		.amdhsa_next_free_sgpr 8
		.amdhsa_named_barrier_count 0
		.amdhsa_reserve_vcc 0
		.amdhsa_float_round_mode_32 0
		.amdhsa_float_round_mode_16_64 0
		.amdhsa_float_denorm_mode_32 3
		.amdhsa_float_denorm_mode_16_64 3
		.amdhsa_fp16_overflow 0
		.amdhsa_memory_ordered 1
		.amdhsa_forward_progress 1
		.amdhsa_inst_pref_size 2
		.amdhsa_round_robin_scheduling 0
		.amdhsa_exception_fp_ieee_invalid_op 0
		.amdhsa_exception_fp_denorm_src 0
		.amdhsa_exception_fp_ieee_div_zero 0
		.amdhsa_exception_fp_ieee_overflow 0
		.amdhsa_exception_fp_ieee_underflow 0
		.amdhsa_exception_fp_ieee_inexact 0
		.amdhsa_exception_int_div_zero 0
	.end_amdhsa_kernel
	.section	.text._ZN9rocsparseL25kernel_get_permuted_arrayILj512EfiEEvT1_PKT0_PS2_PKS1_,"axG",@progbits,_ZN9rocsparseL25kernel_get_permuted_arrayILj512EfiEEvT1_PKT0_PS2_PKS1_,comdat
.Lfunc_end28:
	.size	_ZN9rocsparseL25kernel_get_permuted_arrayILj512EfiEEvT1_PKT0_PS2_PKS1_, .Lfunc_end28-_ZN9rocsparseL25kernel_get_permuted_arrayILj512EfiEEvT1_PKT0_PS2_PKS1_
                                        ; -- End function
	.set _ZN9rocsparseL25kernel_get_permuted_arrayILj512EfiEEvT1_PKT0_PS2_PKS1_.num_vgpr, 2
	.set _ZN9rocsparseL25kernel_get_permuted_arrayILj512EfiEEvT1_PKT0_PS2_PKS1_.num_agpr, 0
	.set _ZN9rocsparseL25kernel_get_permuted_arrayILj512EfiEEvT1_PKT0_PS2_PKS1_.numbered_sgpr, 8
	.set _ZN9rocsparseL25kernel_get_permuted_arrayILj512EfiEEvT1_PKT0_PS2_PKS1_.num_named_barrier, 0
	.set _ZN9rocsparseL25kernel_get_permuted_arrayILj512EfiEEvT1_PKT0_PS2_PKS1_.private_seg_size, 0
	.set _ZN9rocsparseL25kernel_get_permuted_arrayILj512EfiEEvT1_PKT0_PS2_PKS1_.uses_vcc, 0
	.set _ZN9rocsparseL25kernel_get_permuted_arrayILj512EfiEEvT1_PKT0_PS2_PKS1_.uses_flat_scratch, 0
	.set _ZN9rocsparseL25kernel_get_permuted_arrayILj512EfiEEvT1_PKT0_PS2_PKS1_.has_dyn_sized_stack, 0
	.set _ZN9rocsparseL25kernel_get_permuted_arrayILj512EfiEEvT1_PKT0_PS2_PKS1_.has_recursion, 0
	.set _ZN9rocsparseL25kernel_get_permuted_arrayILj512EfiEEvT1_PKT0_PS2_PKS1_.has_indirect_call, 0
	.section	.AMDGPU.csdata,"",@progbits
; Kernel info:
; codeLenInByte = 172
; TotalNumSgprs: 8
; NumVgprs: 2
; ScratchSize: 0
; MemoryBound: 0
; FloatMode: 240
; IeeeMode: 1
; LDSByteSize: 0 bytes/workgroup (compile time only)
; SGPRBlocks: 0
; VGPRBlocks: 0
; NumSGPRsForWavesPerEU: 8
; NumVGPRsForWavesPerEU: 2
; NamedBarCnt: 0
; Occupancy: 16
; WaveLimiterHint : 1
; COMPUTE_PGM_RSRC2:SCRATCH_EN: 0
; COMPUTE_PGM_RSRC2:USER_SGPR: 2
; COMPUTE_PGM_RSRC2:TRAP_HANDLER: 0
; COMPUTE_PGM_RSRC2:TGID_X_EN: 1
; COMPUTE_PGM_RSRC2:TGID_Y_EN: 0
; COMPUTE_PGM_RSRC2:TGID_Z_EN: 0
; COMPUTE_PGM_RSRC2:TIDIG_COMP_CNT: 0
	.section	.text._ZN9rocsparseL25kernel_set_permuted_arrayILj512EfiEEvT1_PT0_PKS2_PKS1_,"axG",@progbits,_ZN9rocsparseL25kernel_set_permuted_arrayILj512EfiEEvT1_PT0_PKS2_PKS1_,comdat
	.globl	_ZN9rocsparseL25kernel_set_permuted_arrayILj512EfiEEvT1_PT0_PKS2_PKS1_ ; -- Begin function _ZN9rocsparseL25kernel_set_permuted_arrayILj512EfiEEvT1_PT0_PKS2_PKS1_
	.p2align	8
	.type	_ZN9rocsparseL25kernel_set_permuted_arrayILj512EfiEEvT1_PT0_PKS2_PKS1_,@function
_ZN9rocsparseL25kernel_set_permuted_arrayILj512EfiEEvT1_PT0_PKS2_PKS1_: ; @_ZN9rocsparseL25kernel_set_permuted_arrayILj512EfiEEvT1_PT0_PKS2_PKS1_
; %bb.0:
	s_clause 0x1
	s_load_b32 s2, s[0:1], 0x2c
	s_load_b32 s3, s[0:1], 0x0
	s_bfe_u32 s4, ttmp6, 0x4000c
	s_and_b32 s5, ttmp6, 15
	s_add_co_i32 s4, s4, 1
	s_getreg_b32 s6, hwreg(HW_REG_IB_STS2, 6, 4)
	s_mul_i32 s4, ttmp9, s4
	s_delay_alu instid0(SALU_CYCLE_1) | instskip(SKIP_4) | instid1(SALU_CYCLE_1)
	s_add_co_i32 s5, s5, s4
	s_wait_kmcnt 0x0
	s_and_b32 s2, s2, 0xffff
	s_cmp_eq_u32 s6, 0
	s_cselect_b32 s4, ttmp9, s5
	v_mad_u32 v0, s4, s2, v0
	s_mov_b32 s2, exec_lo
	s_delay_alu instid0(VALU_DEP_1)
	v_cmpx_gt_i32_e64 s3, v0
	s_cbranch_execz .LBB29_2
; %bb.1:
	s_clause 0x1
	s_load_b128 s[4:7], s[0:1], 0x8
	s_load_b64 s[2:3], s[0:1], 0x18
	s_wait_kmcnt 0x0
	s_clause 0x1
	global_load_b32 v1, v0, s[6:7] scale_offset
	global_load_b32 v2, v0, s[2:3] scale_offset
	s_wait_loadcnt 0x0
	global_store_b32 v2, v1, s[4:5] scale_offset
.LBB29_2:
	s_endpgm
	.section	.rodata,"a",@progbits
	.p2align	6, 0x0
	.amdhsa_kernel _ZN9rocsparseL25kernel_set_permuted_arrayILj512EfiEEvT1_PT0_PKS2_PKS1_
		.amdhsa_group_segment_fixed_size 0
		.amdhsa_private_segment_fixed_size 0
		.amdhsa_kernarg_size 288
		.amdhsa_user_sgpr_count 2
		.amdhsa_user_sgpr_dispatch_ptr 0
		.amdhsa_user_sgpr_queue_ptr 0
		.amdhsa_user_sgpr_kernarg_segment_ptr 1
		.amdhsa_user_sgpr_dispatch_id 0
		.amdhsa_user_sgpr_kernarg_preload_length 0
		.amdhsa_user_sgpr_kernarg_preload_offset 0
		.amdhsa_user_sgpr_private_segment_size 0
		.amdhsa_wavefront_size32 1
		.amdhsa_uses_dynamic_stack 0
		.amdhsa_enable_private_segment 0
		.amdhsa_system_sgpr_workgroup_id_x 1
		.amdhsa_system_sgpr_workgroup_id_y 0
		.amdhsa_system_sgpr_workgroup_id_z 0
		.amdhsa_system_sgpr_workgroup_info 0
		.amdhsa_system_vgpr_workitem_id 0
		.amdhsa_next_free_vgpr 3
		.amdhsa_next_free_sgpr 8
		.amdhsa_named_barrier_count 0
		.amdhsa_reserve_vcc 0
		.amdhsa_float_round_mode_32 0
		.amdhsa_float_round_mode_16_64 0
		.amdhsa_float_denorm_mode_32 3
		.amdhsa_float_denorm_mode_16_64 3
		.amdhsa_fp16_overflow 0
		.amdhsa_memory_ordered 1
		.amdhsa_forward_progress 1
		.amdhsa_inst_pref_size 2
		.amdhsa_round_robin_scheduling 0
		.amdhsa_exception_fp_ieee_invalid_op 0
		.amdhsa_exception_fp_denorm_src 0
		.amdhsa_exception_fp_ieee_div_zero 0
		.amdhsa_exception_fp_ieee_overflow 0
		.amdhsa_exception_fp_ieee_underflow 0
		.amdhsa_exception_fp_ieee_inexact 0
		.amdhsa_exception_int_div_zero 0
	.end_amdhsa_kernel
	.section	.text._ZN9rocsparseL25kernel_set_permuted_arrayILj512EfiEEvT1_PT0_PKS2_PKS1_,"axG",@progbits,_ZN9rocsparseL25kernel_set_permuted_arrayILj512EfiEEvT1_PT0_PKS2_PKS1_,comdat
.Lfunc_end29:
	.size	_ZN9rocsparseL25kernel_set_permuted_arrayILj512EfiEEvT1_PT0_PKS2_PKS1_, .Lfunc_end29-_ZN9rocsparseL25kernel_set_permuted_arrayILj512EfiEEvT1_PT0_PKS2_PKS1_
                                        ; -- End function
	.set _ZN9rocsparseL25kernel_set_permuted_arrayILj512EfiEEvT1_PT0_PKS2_PKS1_.num_vgpr, 3
	.set _ZN9rocsparseL25kernel_set_permuted_arrayILj512EfiEEvT1_PT0_PKS2_PKS1_.num_agpr, 0
	.set _ZN9rocsparseL25kernel_set_permuted_arrayILj512EfiEEvT1_PT0_PKS2_PKS1_.numbered_sgpr, 8
	.set _ZN9rocsparseL25kernel_set_permuted_arrayILj512EfiEEvT1_PT0_PKS2_PKS1_.num_named_barrier, 0
	.set _ZN9rocsparseL25kernel_set_permuted_arrayILj512EfiEEvT1_PT0_PKS2_PKS1_.private_seg_size, 0
	.set _ZN9rocsparseL25kernel_set_permuted_arrayILj512EfiEEvT1_PT0_PKS2_PKS1_.uses_vcc, 0
	.set _ZN9rocsparseL25kernel_set_permuted_arrayILj512EfiEEvT1_PT0_PKS2_PKS1_.uses_flat_scratch, 0
	.set _ZN9rocsparseL25kernel_set_permuted_arrayILj512EfiEEvT1_PT0_PKS2_PKS1_.has_dyn_sized_stack, 0
	.set _ZN9rocsparseL25kernel_set_permuted_arrayILj512EfiEEvT1_PT0_PKS2_PKS1_.has_recursion, 0
	.set _ZN9rocsparseL25kernel_set_permuted_arrayILj512EfiEEvT1_PT0_PKS2_PKS1_.has_indirect_call, 0
	.section	.AMDGPU.csdata,"",@progbits
; Kernel info:
; codeLenInByte = 172
; TotalNumSgprs: 8
; NumVgprs: 3
; ScratchSize: 0
; MemoryBound: 0
; FloatMode: 240
; IeeeMode: 1
; LDSByteSize: 0 bytes/workgroup (compile time only)
; SGPRBlocks: 0
; VGPRBlocks: 0
; NumSGPRsForWavesPerEU: 8
; NumVGPRsForWavesPerEU: 3
; NamedBarCnt: 0
; Occupancy: 16
; WaveLimiterHint : 1
; COMPUTE_PGM_RSRC2:SCRATCH_EN: 0
; COMPUTE_PGM_RSRC2:USER_SGPR: 2
; COMPUTE_PGM_RSRC2:TRAP_HANDLER: 0
; COMPUTE_PGM_RSRC2:TGID_X_EN: 1
; COMPUTE_PGM_RSRC2:TGID_Y_EN: 0
; COMPUTE_PGM_RSRC2:TGID_Z_EN: 0
; COMPUTE_PGM_RSRC2:TIDIG_COMP_CNT: 0
	.section	.text._ZN9rocsparseL25kernel_set_identity_arrayILj512EdiEEvT1_PT0_,"axG",@progbits,_ZN9rocsparseL25kernel_set_identity_arrayILj512EdiEEvT1_PT0_,comdat
	.globl	_ZN9rocsparseL25kernel_set_identity_arrayILj512EdiEEvT1_PT0_ ; -- Begin function _ZN9rocsparseL25kernel_set_identity_arrayILj512EdiEEvT1_PT0_
	.p2align	8
	.type	_ZN9rocsparseL25kernel_set_identity_arrayILj512EdiEEvT1_PT0_,@function
_ZN9rocsparseL25kernel_set_identity_arrayILj512EdiEEvT1_PT0_: ; @_ZN9rocsparseL25kernel_set_identity_arrayILj512EdiEEvT1_PT0_
; %bb.0:
	s_clause 0x1
	s_load_b32 s2, s[0:1], 0x1c
	s_load_b32 s3, s[0:1], 0x0
	s_bfe_u32 s4, ttmp6, 0x4000c
	s_and_b32 s5, ttmp6, 15
	s_add_co_i32 s4, s4, 1
	s_getreg_b32 s6, hwreg(HW_REG_IB_STS2, 6, 4)
	s_mul_i32 s4, ttmp9, s4
	s_delay_alu instid0(SALU_CYCLE_1) | instskip(SKIP_4) | instid1(SALU_CYCLE_1)
	s_add_co_i32 s5, s5, s4
	s_wait_kmcnt 0x0
	s_and_b32 s2, s2, 0xffff
	s_cmp_eq_u32 s6, 0
	s_cselect_b32 s4, ttmp9, s5
	v_mad_u32 v0, s4, s2, v0
	s_mov_b32 s2, exec_lo
	s_delay_alu instid0(VALU_DEP_1)
	v_cmpx_gt_i32_e64 s3, v0
	s_cbranch_execz .LBB30_2
; %bb.1:
	s_load_b64 s[0:1], s[0:1], 0x8
	v_mov_b64_e32 v[2:3], 1.0
	s_wait_kmcnt 0x0
	global_store_b64 v0, v[2:3], s[0:1] scale_offset
.LBB30_2:
	s_endpgm
	.section	.rodata,"a",@progbits
	.p2align	6, 0x0
	.amdhsa_kernel _ZN9rocsparseL25kernel_set_identity_arrayILj512EdiEEvT1_PT0_
		.amdhsa_group_segment_fixed_size 0
		.amdhsa_private_segment_fixed_size 0
		.amdhsa_kernarg_size 272
		.amdhsa_user_sgpr_count 2
		.amdhsa_user_sgpr_dispatch_ptr 0
		.amdhsa_user_sgpr_queue_ptr 0
		.amdhsa_user_sgpr_kernarg_segment_ptr 1
		.amdhsa_user_sgpr_dispatch_id 0
		.amdhsa_user_sgpr_kernarg_preload_length 0
		.amdhsa_user_sgpr_kernarg_preload_offset 0
		.amdhsa_user_sgpr_private_segment_size 0
		.amdhsa_wavefront_size32 1
		.amdhsa_uses_dynamic_stack 0
		.amdhsa_enable_private_segment 0
		.amdhsa_system_sgpr_workgroup_id_x 1
		.amdhsa_system_sgpr_workgroup_id_y 0
		.amdhsa_system_sgpr_workgroup_id_z 0
		.amdhsa_system_sgpr_workgroup_info 0
		.amdhsa_system_vgpr_workitem_id 0
		.amdhsa_next_free_vgpr 4
		.amdhsa_next_free_sgpr 7
		.amdhsa_named_barrier_count 0
		.amdhsa_reserve_vcc 0
		.amdhsa_float_round_mode_32 0
		.amdhsa_float_round_mode_16_64 0
		.amdhsa_float_denorm_mode_32 3
		.amdhsa_float_denorm_mode_16_64 3
		.amdhsa_fp16_overflow 0
		.amdhsa_memory_ordered 1
		.amdhsa_forward_progress 1
		.amdhsa_inst_pref_size 2
		.amdhsa_round_robin_scheduling 0
		.amdhsa_exception_fp_ieee_invalid_op 0
		.amdhsa_exception_fp_denorm_src 0
		.amdhsa_exception_fp_ieee_div_zero 0
		.amdhsa_exception_fp_ieee_overflow 0
		.amdhsa_exception_fp_ieee_underflow 0
		.amdhsa_exception_fp_ieee_inexact 0
		.amdhsa_exception_int_div_zero 0
	.end_amdhsa_kernel
	.section	.text._ZN9rocsparseL25kernel_set_identity_arrayILj512EdiEEvT1_PT0_,"axG",@progbits,_ZN9rocsparseL25kernel_set_identity_arrayILj512EdiEEvT1_PT0_,comdat
.Lfunc_end30:
	.size	_ZN9rocsparseL25kernel_set_identity_arrayILj512EdiEEvT1_PT0_, .Lfunc_end30-_ZN9rocsparseL25kernel_set_identity_arrayILj512EdiEEvT1_PT0_
                                        ; -- End function
	.set _ZN9rocsparseL25kernel_set_identity_arrayILj512EdiEEvT1_PT0_.num_vgpr, 4
	.set _ZN9rocsparseL25kernel_set_identity_arrayILj512EdiEEvT1_PT0_.num_agpr, 0
	.set _ZN9rocsparseL25kernel_set_identity_arrayILj512EdiEEvT1_PT0_.numbered_sgpr, 7
	.set _ZN9rocsparseL25kernel_set_identity_arrayILj512EdiEEvT1_PT0_.num_named_barrier, 0
	.set _ZN9rocsparseL25kernel_set_identity_arrayILj512EdiEEvT1_PT0_.private_seg_size, 0
	.set _ZN9rocsparseL25kernel_set_identity_arrayILj512EdiEEvT1_PT0_.uses_vcc, 0
	.set _ZN9rocsparseL25kernel_set_identity_arrayILj512EdiEEvT1_PT0_.uses_flat_scratch, 0
	.set _ZN9rocsparseL25kernel_set_identity_arrayILj512EdiEEvT1_PT0_.has_dyn_sized_stack, 0
	.set _ZN9rocsparseL25kernel_set_identity_arrayILj512EdiEEvT1_PT0_.has_recursion, 0
	.set _ZN9rocsparseL25kernel_set_identity_arrayILj512EdiEEvT1_PT0_.has_indirect_call, 0
	.section	.AMDGPU.csdata,"",@progbits
; Kernel info:
; codeLenInByte = 132
; TotalNumSgprs: 7
; NumVgprs: 4
; ScratchSize: 0
; MemoryBound: 0
; FloatMode: 240
; IeeeMode: 1
; LDSByteSize: 0 bytes/workgroup (compile time only)
; SGPRBlocks: 0
; VGPRBlocks: 0
; NumSGPRsForWavesPerEU: 7
; NumVGPRsForWavesPerEU: 4
; NamedBarCnt: 0
; Occupancy: 16
; WaveLimiterHint : 0
; COMPUTE_PGM_RSRC2:SCRATCH_EN: 0
; COMPUTE_PGM_RSRC2:USER_SGPR: 2
; COMPUTE_PGM_RSRC2:TRAP_HANDLER: 0
; COMPUTE_PGM_RSRC2:TGID_X_EN: 1
; COMPUTE_PGM_RSRC2:TGID_Y_EN: 0
; COMPUTE_PGM_RSRC2:TGID_Z_EN: 0
; COMPUTE_PGM_RSRC2:TIDIG_COMP_CNT: 0
	.section	.text._ZN9rocsparseL25kernel_get_permuted_arrayILj512EdiEEvT1_PKT0_PS2_PKS1_,"axG",@progbits,_ZN9rocsparseL25kernel_get_permuted_arrayILj512EdiEEvT1_PKT0_PS2_PKS1_,comdat
	.globl	_ZN9rocsparseL25kernel_get_permuted_arrayILj512EdiEEvT1_PKT0_PS2_PKS1_ ; -- Begin function _ZN9rocsparseL25kernel_get_permuted_arrayILj512EdiEEvT1_PKT0_PS2_PKS1_
	.p2align	8
	.type	_ZN9rocsparseL25kernel_get_permuted_arrayILj512EdiEEvT1_PKT0_PS2_PKS1_,@function
_ZN9rocsparseL25kernel_get_permuted_arrayILj512EdiEEvT1_PKT0_PS2_PKS1_: ; @_ZN9rocsparseL25kernel_get_permuted_arrayILj512EdiEEvT1_PKT0_PS2_PKS1_
; %bb.0:
	s_clause 0x1
	s_load_b32 s2, s[0:1], 0x2c
	s_load_b32 s3, s[0:1], 0x0
	s_bfe_u32 s4, ttmp6, 0x4000c
	s_and_b32 s5, ttmp6, 15
	s_add_co_i32 s4, s4, 1
	s_getreg_b32 s6, hwreg(HW_REG_IB_STS2, 6, 4)
	s_mul_i32 s4, ttmp9, s4
	s_delay_alu instid0(SALU_CYCLE_1) | instskip(SKIP_4) | instid1(SALU_CYCLE_1)
	s_add_co_i32 s5, s5, s4
	s_wait_kmcnt 0x0
	s_and_b32 s2, s2, 0xffff
	s_cmp_eq_u32 s6, 0
	s_cselect_b32 s4, ttmp9, s5
	v_mad_u32 v0, s4, s2, v0
	s_mov_b32 s2, exec_lo
	s_delay_alu instid0(VALU_DEP_1)
	v_cmpx_gt_i32_e64 s3, v0
	s_cbranch_execz .LBB31_2
; %bb.1:
	s_clause 0x1
	s_load_b64 s[2:3], s[0:1], 0x18
	s_load_b128 s[4:7], s[0:1], 0x8
	s_wait_kmcnt 0x0
	global_load_b32 v1, v0, s[2:3] scale_offset
	s_wait_loadcnt 0x0
	global_load_b64 v[2:3], v1, s[4:5] scale_offset
	s_wait_loadcnt 0x0
	global_store_b64 v0, v[2:3], s[6:7] scale_offset
.LBB31_2:
	s_endpgm
	.section	.rodata,"a",@progbits
	.p2align	6, 0x0
	.amdhsa_kernel _ZN9rocsparseL25kernel_get_permuted_arrayILj512EdiEEvT1_PKT0_PS2_PKS1_
		.amdhsa_group_segment_fixed_size 0
		.amdhsa_private_segment_fixed_size 0
		.amdhsa_kernarg_size 288
		.amdhsa_user_sgpr_count 2
		.amdhsa_user_sgpr_dispatch_ptr 0
		.amdhsa_user_sgpr_queue_ptr 0
		.amdhsa_user_sgpr_kernarg_segment_ptr 1
		.amdhsa_user_sgpr_dispatch_id 0
		.amdhsa_user_sgpr_kernarg_preload_length 0
		.amdhsa_user_sgpr_kernarg_preload_offset 0
		.amdhsa_user_sgpr_private_segment_size 0
		.amdhsa_wavefront_size32 1
		.amdhsa_uses_dynamic_stack 0
		.amdhsa_enable_private_segment 0
		.amdhsa_system_sgpr_workgroup_id_x 1
		.amdhsa_system_sgpr_workgroup_id_y 0
		.amdhsa_system_sgpr_workgroup_id_z 0
		.amdhsa_system_sgpr_workgroup_info 0
		.amdhsa_system_vgpr_workitem_id 0
		.amdhsa_next_free_vgpr 4
		.amdhsa_next_free_sgpr 8
		.amdhsa_named_barrier_count 0
		.amdhsa_reserve_vcc 0
		.amdhsa_float_round_mode_32 0
		.amdhsa_float_round_mode_16_64 0
		.amdhsa_float_denorm_mode_32 3
		.amdhsa_float_denorm_mode_16_64 3
		.amdhsa_fp16_overflow 0
		.amdhsa_memory_ordered 1
		.amdhsa_forward_progress 1
		.amdhsa_inst_pref_size 2
		.amdhsa_round_robin_scheduling 0
		.amdhsa_exception_fp_ieee_invalid_op 0
		.amdhsa_exception_fp_denorm_src 0
		.amdhsa_exception_fp_ieee_div_zero 0
		.amdhsa_exception_fp_ieee_overflow 0
		.amdhsa_exception_fp_ieee_underflow 0
		.amdhsa_exception_fp_ieee_inexact 0
		.amdhsa_exception_int_div_zero 0
	.end_amdhsa_kernel
	.section	.text._ZN9rocsparseL25kernel_get_permuted_arrayILj512EdiEEvT1_PKT0_PS2_PKS1_,"axG",@progbits,_ZN9rocsparseL25kernel_get_permuted_arrayILj512EdiEEvT1_PKT0_PS2_PKS1_,comdat
.Lfunc_end31:
	.size	_ZN9rocsparseL25kernel_get_permuted_arrayILj512EdiEEvT1_PKT0_PS2_PKS1_, .Lfunc_end31-_ZN9rocsparseL25kernel_get_permuted_arrayILj512EdiEEvT1_PKT0_PS2_PKS1_
                                        ; -- End function
	.set _ZN9rocsparseL25kernel_get_permuted_arrayILj512EdiEEvT1_PKT0_PS2_PKS1_.num_vgpr, 4
	.set _ZN9rocsparseL25kernel_get_permuted_arrayILj512EdiEEvT1_PKT0_PS2_PKS1_.num_agpr, 0
	.set _ZN9rocsparseL25kernel_get_permuted_arrayILj512EdiEEvT1_PKT0_PS2_PKS1_.numbered_sgpr, 8
	.set _ZN9rocsparseL25kernel_get_permuted_arrayILj512EdiEEvT1_PKT0_PS2_PKS1_.num_named_barrier, 0
	.set _ZN9rocsparseL25kernel_get_permuted_arrayILj512EdiEEvT1_PKT0_PS2_PKS1_.private_seg_size, 0
	.set _ZN9rocsparseL25kernel_get_permuted_arrayILj512EdiEEvT1_PKT0_PS2_PKS1_.uses_vcc, 0
	.set _ZN9rocsparseL25kernel_get_permuted_arrayILj512EdiEEvT1_PKT0_PS2_PKS1_.uses_flat_scratch, 0
	.set _ZN9rocsparseL25kernel_get_permuted_arrayILj512EdiEEvT1_PKT0_PS2_PKS1_.has_dyn_sized_stack, 0
	.set _ZN9rocsparseL25kernel_get_permuted_arrayILj512EdiEEvT1_PKT0_PS2_PKS1_.has_recursion, 0
	.set _ZN9rocsparseL25kernel_get_permuted_arrayILj512EdiEEvT1_PKT0_PS2_PKS1_.has_indirect_call, 0
	.section	.AMDGPU.csdata,"",@progbits
; Kernel info:
; codeLenInByte = 172
; TotalNumSgprs: 8
; NumVgprs: 4
; ScratchSize: 0
; MemoryBound: 0
; FloatMode: 240
; IeeeMode: 1
; LDSByteSize: 0 bytes/workgroup (compile time only)
; SGPRBlocks: 0
; VGPRBlocks: 0
; NumSGPRsForWavesPerEU: 8
; NumVGPRsForWavesPerEU: 4
; NamedBarCnt: 0
; Occupancy: 16
; WaveLimiterHint : 1
; COMPUTE_PGM_RSRC2:SCRATCH_EN: 0
; COMPUTE_PGM_RSRC2:USER_SGPR: 2
; COMPUTE_PGM_RSRC2:TRAP_HANDLER: 0
; COMPUTE_PGM_RSRC2:TGID_X_EN: 1
; COMPUTE_PGM_RSRC2:TGID_Y_EN: 0
; COMPUTE_PGM_RSRC2:TGID_Z_EN: 0
; COMPUTE_PGM_RSRC2:TIDIG_COMP_CNT: 0
	.section	.text._ZN9rocsparseL25kernel_set_permuted_arrayILj512EdiEEvT1_PT0_PKS2_PKS1_,"axG",@progbits,_ZN9rocsparseL25kernel_set_permuted_arrayILj512EdiEEvT1_PT0_PKS2_PKS1_,comdat
	.globl	_ZN9rocsparseL25kernel_set_permuted_arrayILj512EdiEEvT1_PT0_PKS2_PKS1_ ; -- Begin function _ZN9rocsparseL25kernel_set_permuted_arrayILj512EdiEEvT1_PT0_PKS2_PKS1_
	.p2align	8
	.type	_ZN9rocsparseL25kernel_set_permuted_arrayILj512EdiEEvT1_PT0_PKS2_PKS1_,@function
_ZN9rocsparseL25kernel_set_permuted_arrayILj512EdiEEvT1_PT0_PKS2_PKS1_: ; @_ZN9rocsparseL25kernel_set_permuted_arrayILj512EdiEEvT1_PT0_PKS2_PKS1_
; %bb.0:
	s_clause 0x1
	s_load_b32 s2, s[0:1], 0x2c
	s_load_b32 s3, s[0:1], 0x0
	s_bfe_u32 s4, ttmp6, 0x4000c
	s_and_b32 s5, ttmp6, 15
	s_add_co_i32 s4, s4, 1
	s_getreg_b32 s6, hwreg(HW_REG_IB_STS2, 6, 4)
	s_mul_i32 s4, ttmp9, s4
	s_delay_alu instid0(SALU_CYCLE_1) | instskip(SKIP_4) | instid1(SALU_CYCLE_1)
	s_add_co_i32 s5, s5, s4
	s_wait_kmcnt 0x0
	s_and_b32 s2, s2, 0xffff
	s_cmp_eq_u32 s6, 0
	s_cselect_b32 s4, ttmp9, s5
	v_mad_u32 v0, s4, s2, v0
	s_mov_b32 s2, exec_lo
	s_delay_alu instid0(VALU_DEP_1)
	v_cmpx_gt_i32_e64 s3, v0
	s_cbranch_execz .LBB32_2
; %bb.1:
	s_clause 0x1
	s_load_b128 s[4:7], s[0:1], 0x8
	s_load_b64 s[2:3], s[0:1], 0x18
	s_wait_kmcnt 0x0
	s_clause 0x1
	global_load_b64 v[2:3], v0, s[6:7] scale_offset
	global_load_b32 v1, v0, s[2:3] scale_offset
	s_wait_loadcnt 0x0
	global_store_b64 v1, v[2:3], s[4:5] scale_offset
.LBB32_2:
	s_endpgm
	.section	.rodata,"a",@progbits
	.p2align	6, 0x0
	.amdhsa_kernel _ZN9rocsparseL25kernel_set_permuted_arrayILj512EdiEEvT1_PT0_PKS2_PKS1_
		.amdhsa_group_segment_fixed_size 0
		.amdhsa_private_segment_fixed_size 0
		.amdhsa_kernarg_size 288
		.amdhsa_user_sgpr_count 2
		.amdhsa_user_sgpr_dispatch_ptr 0
		.amdhsa_user_sgpr_queue_ptr 0
		.amdhsa_user_sgpr_kernarg_segment_ptr 1
		.amdhsa_user_sgpr_dispatch_id 0
		.amdhsa_user_sgpr_kernarg_preload_length 0
		.amdhsa_user_sgpr_kernarg_preload_offset 0
		.amdhsa_user_sgpr_private_segment_size 0
		.amdhsa_wavefront_size32 1
		.amdhsa_uses_dynamic_stack 0
		.amdhsa_enable_private_segment 0
		.amdhsa_system_sgpr_workgroup_id_x 1
		.amdhsa_system_sgpr_workgroup_id_y 0
		.amdhsa_system_sgpr_workgroup_id_z 0
		.amdhsa_system_sgpr_workgroup_info 0
		.amdhsa_system_vgpr_workitem_id 0
		.amdhsa_next_free_vgpr 4
		.amdhsa_next_free_sgpr 8
		.amdhsa_named_barrier_count 0
		.amdhsa_reserve_vcc 0
		.amdhsa_float_round_mode_32 0
		.amdhsa_float_round_mode_16_64 0
		.amdhsa_float_denorm_mode_32 3
		.amdhsa_float_denorm_mode_16_64 3
		.amdhsa_fp16_overflow 0
		.amdhsa_memory_ordered 1
		.amdhsa_forward_progress 1
		.amdhsa_inst_pref_size 2
		.amdhsa_round_robin_scheduling 0
		.amdhsa_exception_fp_ieee_invalid_op 0
		.amdhsa_exception_fp_denorm_src 0
		.amdhsa_exception_fp_ieee_div_zero 0
		.amdhsa_exception_fp_ieee_overflow 0
		.amdhsa_exception_fp_ieee_underflow 0
		.amdhsa_exception_fp_ieee_inexact 0
		.amdhsa_exception_int_div_zero 0
	.end_amdhsa_kernel
	.section	.text._ZN9rocsparseL25kernel_set_permuted_arrayILj512EdiEEvT1_PT0_PKS2_PKS1_,"axG",@progbits,_ZN9rocsparseL25kernel_set_permuted_arrayILj512EdiEEvT1_PT0_PKS2_PKS1_,comdat
.Lfunc_end32:
	.size	_ZN9rocsparseL25kernel_set_permuted_arrayILj512EdiEEvT1_PT0_PKS2_PKS1_, .Lfunc_end32-_ZN9rocsparseL25kernel_set_permuted_arrayILj512EdiEEvT1_PT0_PKS2_PKS1_
                                        ; -- End function
	.set _ZN9rocsparseL25kernel_set_permuted_arrayILj512EdiEEvT1_PT0_PKS2_PKS1_.num_vgpr, 4
	.set _ZN9rocsparseL25kernel_set_permuted_arrayILj512EdiEEvT1_PT0_PKS2_PKS1_.num_agpr, 0
	.set _ZN9rocsparseL25kernel_set_permuted_arrayILj512EdiEEvT1_PT0_PKS2_PKS1_.numbered_sgpr, 8
	.set _ZN9rocsparseL25kernel_set_permuted_arrayILj512EdiEEvT1_PT0_PKS2_PKS1_.num_named_barrier, 0
	.set _ZN9rocsparseL25kernel_set_permuted_arrayILj512EdiEEvT1_PT0_PKS2_PKS1_.private_seg_size, 0
	.set _ZN9rocsparseL25kernel_set_permuted_arrayILj512EdiEEvT1_PT0_PKS2_PKS1_.uses_vcc, 0
	.set _ZN9rocsparseL25kernel_set_permuted_arrayILj512EdiEEvT1_PT0_PKS2_PKS1_.uses_flat_scratch, 0
	.set _ZN9rocsparseL25kernel_set_permuted_arrayILj512EdiEEvT1_PT0_PKS2_PKS1_.has_dyn_sized_stack, 0
	.set _ZN9rocsparseL25kernel_set_permuted_arrayILj512EdiEEvT1_PT0_PKS2_PKS1_.has_recursion, 0
	.set _ZN9rocsparseL25kernel_set_permuted_arrayILj512EdiEEvT1_PT0_PKS2_PKS1_.has_indirect_call, 0
	.section	.AMDGPU.csdata,"",@progbits
; Kernel info:
; codeLenInByte = 172
; TotalNumSgprs: 8
; NumVgprs: 4
; ScratchSize: 0
; MemoryBound: 0
; FloatMode: 240
; IeeeMode: 1
; LDSByteSize: 0 bytes/workgroup (compile time only)
; SGPRBlocks: 0
; VGPRBlocks: 0
; NumSGPRsForWavesPerEU: 8
; NumVGPRsForWavesPerEU: 4
; NamedBarCnt: 0
; Occupancy: 16
; WaveLimiterHint : 1
; COMPUTE_PGM_RSRC2:SCRATCH_EN: 0
; COMPUTE_PGM_RSRC2:USER_SGPR: 2
; COMPUTE_PGM_RSRC2:TRAP_HANDLER: 0
; COMPUTE_PGM_RSRC2:TGID_X_EN: 1
; COMPUTE_PGM_RSRC2:TGID_Y_EN: 0
; COMPUTE_PGM_RSRC2:TGID_Z_EN: 0
; COMPUTE_PGM_RSRC2:TIDIG_COMP_CNT: 0
	.section	.text._ZN9rocsparseL25kernel_set_identity_arrayILj512E21rocsparse_complex_numIfEiEEvT1_PT0_,"axG",@progbits,_ZN9rocsparseL25kernel_set_identity_arrayILj512E21rocsparse_complex_numIfEiEEvT1_PT0_,comdat
	.globl	_ZN9rocsparseL25kernel_set_identity_arrayILj512E21rocsparse_complex_numIfEiEEvT1_PT0_ ; -- Begin function _ZN9rocsparseL25kernel_set_identity_arrayILj512E21rocsparse_complex_numIfEiEEvT1_PT0_
	.p2align	8
	.type	_ZN9rocsparseL25kernel_set_identity_arrayILj512E21rocsparse_complex_numIfEiEEvT1_PT0_,@function
_ZN9rocsparseL25kernel_set_identity_arrayILj512E21rocsparse_complex_numIfEiEEvT1_PT0_: ; @_ZN9rocsparseL25kernel_set_identity_arrayILj512E21rocsparse_complex_numIfEiEEvT1_PT0_
; %bb.0:
	s_clause 0x1
	s_load_b32 s2, s[0:1], 0x1c
	s_load_b32 s3, s[0:1], 0x0
	s_bfe_u32 s4, ttmp6, 0x4000c
	s_and_b32 s5, ttmp6, 15
	s_add_co_i32 s4, s4, 1
	s_getreg_b32 s6, hwreg(HW_REG_IB_STS2, 6, 4)
	s_mul_i32 s4, ttmp9, s4
	s_delay_alu instid0(SALU_CYCLE_1) | instskip(SKIP_4) | instid1(SALU_CYCLE_1)
	s_add_co_i32 s5, s5, s4
	s_wait_kmcnt 0x0
	s_and_b32 s2, s2, 0xffff
	s_cmp_eq_u32 s6, 0
	s_cselect_b32 s4, ttmp9, s5
	v_mad_u32 v0, s4, s2, v0
	s_mov_b32 s2, exec_lo
	s_delay_alu instid0(VALU_DEP_1)
	v_cmpx_gt_i32_e64 s3, v0
	s_cbranch_execz .LBB33_2
; %bb.1:
	s_load_b64 s[0:1], s[0:1], 0x8
	v_mov_b64_e32 v[2:3], 0x3f800000
	s_wait_kmcnt 0x0
	global_store_b64 v0, v[2:3], s[0:1] scale_offset
.LBB33_2:
	s_endpgm
	.section	.rodata,"a",@progbits
	.p2align	6, 0x0
	.amdhsa_kernel _ZN9rocsparseL25kernel_set_identity_arrayILj512E21rocsparse_complex_numIfEiEEvT1_PT0_
		.amdhsa_group_segment_fixed_size 0
		.amdhsa_private_segment_fixed_size 0
		.amdhsa_kernarg_size 272
		.amdhsa_user_sgpr_count 2
		.amdhsa_user_sgpr_dispatch_ptr 0
		.amdhsa_user_sgpr_queue_ptr 0
		.amdhsa_user_sgpr_kernarg_segment_ptr 1
		.amdhsa_user_sgpr_dispatch_id 0
		.amdhsa_user_sgpr_kernarg_preload_length 0
		.amdhsa_user_sgpr_kernarg_preload_offset 0
		.amdhsa_user_sgpr_private_segment_size 0
		.amdhsa_wavefront_size32 1
		.amdhsa_uses_dynamic_stack 0
		.amdhsa_enable_private_segment 0
		.amdhsa_system_sgpr_workgroup_id_x 1
		.amdhsa_system_sgpr_workgroup_id_y 0
		.amdhsa_system_sgpr_workgroup_id_z 0
		.amdhsa_system_sgpr_workgroup_info 0
		.amdhsa_system_vgpr_workitem_id 0
		.amdhsa_next_free_vgpr 4
		.amdhsa_next_free_sgpr 7
		.amdhsa_named_barrier_count 0
		.amdhsa_reserve_vcc 0
		.amdhsa_float_round_mode_32 0
		.amdhsa_float_round_mode_16_64 0
		.amdhsa_float_denorm_mode_32 3
		.amdhsa_float_denorm_mode_16_64 3
		.amdhsa_fp16_overflow 0
		.amdhsa_memory_ordered 1
		.amdhsa_forward_progress 1
		.amdhsa_inst_pref_size 2
		.amdhsa_round_robin_scheduling 0
		.amdhsa_exception_fp_ieee_invalid_op 0
		.amdhsa_exception_fp_denorm_src 0
		.amdhsa_exception_fp_ieee_div_zero 0
		.amdhsa_exception_fp_ieee_overflow 0
		.amdhsa_exception_fp_ieee_underflow 0
		.amdhsa_exception_fp_ieee_inexact 0
		.amdhsa_exception_int_div_zero 0
	.end_amdhsa_kernel
	.section	.text._ZN9rocsparseL25kernel_set_identity_arrayILj512E21rocsparse_complex_numIfEiEEvT1_PT0_,"axG",@progbits,_ZN9rocsparseL25kernel_set_identity_arrayILj512E21rocsparse_complex_numIfEiEEvT1_PT0_,comdat
.Lfunc_end33:
	.size	_ZN9rocsparseL25kernel_set_identity_arrayILj512E21rocsparse_complex_numIfEiEEvT1_PT0_, .Lfunc_end33-_ZN9rocsparseL25kernel_set_identity_arrayILj512E21rocsparse_complex_numIfEiEEvT1_PT0_
                                        ; -- End function
	.set _ZN9rocsparseL25kernel_set_identity_arrayILj512E21rocsparse_complex_numIfEiEEvT1_PT0_.num_vgpr, 4
	.set _ZN9rocsparseL25kernel_set_identity_arrayILj512E21rocsparse_complex_numIfEiEEvT1_PT0_.num_agpr, 0
	.set _ZN9rocsparseL25kernel_set_identity_arrayILj512E21rocsparse_complex_numIfEiEEvT1_PT0_.numbered_sgpr, 7
	.set _ZN9rocsparseL25kernel_set_identity_arrayILj512E21rocsparse_complex_numIfEiEEvT1_PT0_.num_named_barrier, 0
	.set _ZN9rocsparseL25kernel_set_identity_arrayILj512E21rocsparse_complex_numIfEiEEvT1_PT0_.private_seg_size, 0
	.set _ZN9rocsparseL25kernel_set_identity_arrayILj512E21rocsparse_complex_numIfEiEEvT1_PT0_.uses_vcc, 0
	.set _ZN9rocsparseL25kernel_set_identity_arrayILj512E21rocsparse_complex_numIfEiEEvT1_PT0_.uses_flat_scratch, 0
	.set _ZN9rocsparseL25kernel_set_identity_arrayILj512E21rocsparse_complex_numIfEiEEvT1_PT0_.has_dyn_sized_stack, 0
	.set _ZN9rocsparseL25kernel_set_identity_arrayILj512E21rocsparse_complex_numIfEiEEvT1_PT0_.has_recursion, 0
	.set _ZN9rocsparseL25kernel_set_identity_arrayILj512E21rocsparse_complex_numIfEiEEvT1_PT0_.has_indirect_call, 0
	.section	.AMDGPU.csdata,"",@progbits
; Kernel info:
; codeLenInByte = 136
; TotalNumSgprs: 7
; NumVgprs: 4
; ScratchSize: 0
; MemoryBound: 0
; FloatMode: 240
; IeeeMode: 1
; LDSByteSize: 0 bytes/workgroup (compile time only)
; SGPRBlocks: 0
; VGPRBlocks: 0
; NumSGPRsForWavesPerEU: 7
; NumVGPRsForWavesPerEU: 4
; NamedBarCnt: 0
; Occupancy: 16
; WaveLimiterHint : 0
; COMPUTE_PGM_RSRC2:SCRATCH_EN: 0
; COMPUTE_PGM_RSRC2:USER_SGPR: 2
; COMPUTE_PGM_RSRC2:TRAP_HANDLER: 0
; COMPUTE_PGM_RSRC2:TGID_X_EN: 1
; COMPUTE_PGM_RSRC2:TGID_Y_EN: 0
; COMPUTE_PGM_RSRC2:TGID_Z_EN: 0
; COMPUTE_PGM_RSRC2:TIDIG_COMP_CNT: 0
	.section	.text._ZN9rocsparseL25kernel_get_permuted_arrayILj512E21rocsparse_complex_numIfEiEEvT1_PKT0_PS4_PKS3_,"axG",@progbits,_ZN9rocsparseL25kernel_get_permuted_arrayILj512E21rocsparse_complex_numIfEiEEvT1_PKT0_PS4_PKS3_,comdat
	.globl	_ZN9rocsparseL25kernel_get_permuted_arrayILj512E21rocsparse_complex_numIfEiEEvT1_PKT0_PS4_PKS3_ ; -- Begin function _ZN9rocsparseL25kernel_get_permuted_arrayILj512E21rocsparse_complex_numIfEiEEvT1_PKT0_PS4_PKS3_
	.p2align	8
	.type	_ZN9rocsparseL25kernel_get_permuted_arrayILj512E21rocsparse_complex_numIfEiEEvT1_PKT0_PS4_PKS3_,@function
_ZN9rocsparseL25kernel_get_permuted_arrayILj512E21rocsparse_complex_numIfEiEEvT1_PKT0_PS4_PKS3_: ; @_ZN9rocsparseL25kernel_get_permuted_arrayILj512E21rocsparse_complex_numIfEiEEvT1_PKT0_PS4_PKS3_
; %bb.0:
	s_clause 0x1
	s_load_b32 s2, s[0:1], 0x2c
	s_load_b32 s3, s[0:1], 0x0
	s_bfe_u32 s4, ttmp6, 0x4000c
	s_and_b32 s5, ttmp6, 15
	s_add_co_i32 s4, s4, 1
	s_getreg_b32 s6, hwreg(HW_REG_IB_STS2, 6, 4)
	s_mul_i32 s4, ttmp9, s4
	s_delay_alu instid0(SALU_CYCLE_1) | instskip(SKIP_4) | instid1(SALU_CYCLE_1)
	s_add_co_i32 s5, s5, s4
	s_wait_kmcnt 0x0
	s_and_b32 s2, s2, 0xffff
	s_cmp_eq_u32 s6, 0
	s_cselect_b32 s4, ttmp9, s5
	v_mad_u32 v0, s4, s2, v0
	s_mov_b32 s2, exec_lo
	s_delay_alu instid0(VALU_DEP_1)
	v_cmpx_gt_i32_e64 s3, v0
	s_cbranch_execz .LBB34_2
; %bb.1:
	s_clause 0x1
	s_load_b64 s[2:3], s[0:1], 0x18
	s_load_b128 s[4:7], s[0:1], 0x8
	s_wait_kmcnt 0x0
	global_load_b32 v1, v0, s[2:3] scale_offset
	s_wait_loadcnt 0x0
	global_load_b64 v[2:3], v1, s[4:5] scale_offset
	s_wait_loadcnt 0x0
	global_store_b64 v0, v[2:3], s[6:7] scale_offset
.LBB34_2:
	s_endpgm
	.section	.rodata,"a",@progbits
	.p2align	6, 0x0
	.amdhsa_kernel _ZN9rocsparseL25kernel_get_permuted_arrayILj512E21rocsparse_complex_numIfEiEEvT1_PKT0_PS4_PKS3_
		.amdhsa_group_segment_fixed_size 0
		.amdhsa_private_segment_fixed_size 0
		.amdhsa_kernarg_size 288
		.amdhsa_user_sgpr_count 2
		.amdhsa_user_sgpr_dispatch_ptr 0
		.amdhsa_user_sgpr_queue_ptr 0
		.amdhsa_user_sgpr_kernarg_segment_ptr 1
		.amdhsa_user_sgpr_dispatch_id 0
		.amdhsa_user_sgpr_kernarg_preload_length 0
		.amdhsa_user_sgpr_kernarg_preload_offset 0
		.amdhsa_user_sgpr_private_segment_size 0
		.amdhsa_wavefront_size32 1
		.amdhsa_uses_dynamic_stack 0
		.amdhsa_enable_private_segment 0
		.amdhsa_system_sgpr_workgroup_id_x 1
		.amdhsa_system_sgpr_workgroup_id_y 0
		.amdhsa_system_sgpr_workgroup_id_z 0
		.amdhsa_system_sgpr_workgroup_info 0
		.amdhsa_system_vgpr_workitem_id 0
		.amdhsa_next_free_vgpr 4
		.amdhsa_next_free_sgpr 8
		.amdhsa_named_barrier_count 0
		.amdhsa_reserve_vcc 0
		.amdhsa_float_round_mode_32 0
		.amdhsa_float_round_mode_16_64 0
		.amdhsa_float_denorm_mode_32 3
		.amdhsa_float_denorm_mode_16_64 3
		.amdhsa_fp16_overflow 0
		.amdhsa_memory_ordered 1
		.amdhsa_forward_progress 1
		.amdhsa_inst_pref_size 2
		.amdhsa_round_robin_scheduling 0
		.amdhsa_exception_fp_ieee_invalid_op 0
		.amdhsa_exception_fp_denorm_src 0
		.amdhsa_exception_fp_ieee_div_zero 0
		.amdhsa_exception_fp_ieee_overflow 0
		.amdhsa_exception_fp_ieee_underflow 0
		.amdhsa_exception_fp_ieee_inexact 0
		.amdhsa_exception_int_div_zero 0
	.end_amdhsa_kernel
	.section	.text._ZN9rocsparseL25kernel_get_permuted_arrayILj512E21rocsparse_complex_numIfEiEEvT1_PKT0_PS4_PKS3_,"axG",@progbits,_ZN9rocsparseL25kernel_get_permuted_arrayILj512E21rocsparse_complex_numIfEiEEvT1_PKT0_PS4_PKS3_,comdat
.Lfunc_end34:
	.size	_ZN9rocsparseL25kernel_get_permuted_arrayILj512E21rocsparse_complex_numIfEiEEvT1_PKT0_PS4_PKS3_, .Lfunc_end34-_ZN9rocsparseL25kernel_get_permuted_arrayILj512E21rocsparse_complex_numIfEiEEvT1_PKT0_PS4_PKS3_
                                        ; -- End function
	.set _ZN9rocsparseL25kernel_get_permuted_arrayILj512E21rocsparse_complex_numIfEiEEvT1_PKT0_PS4_PKS3_.num_vgpr, 4
	.set _ZN9rocsparseL25kernel_get_permuted_arrayILj512E21rocsparse_complex_numIfEiEEvT1_PKT0_PS4_PKS3_.num_agpr, 0
	.set _ZN9rocsparseL25kernel_get_permuted_arrayILj512E21rocsparse_complex_numIfEiEEvT1_PKT0_PS4_PKS3_.numbered_sgpr, 8
	.set _ZN9rocsparseL25kernel_get_permuted_arrayILj512E21rocsparse_complex_numIfEiEEvT1_PKT0_PS4_PKS3_.num_named_barrier, 0
	.set _ZN9rocsparseL25kernel_get_permuted_arrayILj512E21rocsparse_complex_numIfEiEEvT1_PKT0_PS4_PKS3_.private_seg_size, 0
	.set _ZN9rocsparseL25kernel_get_permuted_arrayILj512E21rocsparse_complex_numIfEiEEvT1_PKT0_PS4_PKS3_.uses_vcc, 0
	.set _ZN9rocsparseL25kernel_get_permuted_arrayILj512E21rocsparse_complex_numIfEiEEvT1_PKT0_PS4_PKS3_.uses_flat_scratch, 0
	.set _ZN9rocsparseL25kernel_get_permuted_arrayILj512E21rocsparse_complex_numIfEiEEvT1_PKT0_PS4_PKS3_.has_dyn_sized_stack, 0
	.set _ZN9rocsparseL25kernel_get_permuted_arrayILj512E21rocsparse_complex_numIfEiEEvT1_PKT0_PS4_PKS3_.has_recursion, 0
	.set _ZN9rocsparseL25kernel_get_permuted_arrayILj512E21rocsparse_complex_numIfEiEEvT1_PKT0_PS4_PKS3_.has_indirect_call, 0
	.section	.AMDGPU.csdata,"",@progbits
; Kernel info:
; codeLenInByte = 172
; TotalNumSgprs: 8
; NumVgprs: 4
; ScratchSize: 0
; MemoryBound: 0
; FloatMode: 240
; IeeeMode: 1
; LDSByteSize: 0 bytes/workgroup (compile time only)
; SGPRBlocks: 0
; VGPRBlocks: 0
; NumSGPRsForWavesPerEU: 8
; NumVGPRsForWavesPerEU: 4
; NamedBarCnt: 0
; Occupancy: 16
; WaveLimiterHint : 1
; COMPUTE_PGM_RSRC2:SCRATCH_EN: 0
; COMPUTE_PGM_RSRC2:USER_SGPR: 2
; COMPUTE_PGM_RSRC2:TRAP_HANDLER: 0
; COMPUTE_PGM_RSRC2:TGID_X_EN: 1
; COMPUTE_PGM_RSRC2:TGID_Y_EN: 0
; COMPUTE_PGM_RSRC2:TGID_Z_EN: 0
; COMPUTE_PGM_RSRC2:TIDIG_COMP_CNT: 0
	.section	.text._ZN9rocsparseL25kernel_set_permuted_arrayILj512E21rocsparse_complex_numIfEiEEvT1_PT0_PKS4_PKS3_,"axG",@progbits,_ZN9rocsparseL25kernel_set_permuted_arrayILj512E21rocsparse_complex_numIfEiEEvT1_PT0_PKS4_PKS3_,comdat
	.globl	_ZN9rocsparseL25kernel_set_permuted_arrayILj512E21rocsparse_complex_numIfEiEEvT1_PT0_PKS4_PKS3_ ; -- Begin function _ZN9rocsparseL25kernel_set_permuted_arrayILj512E21rocsparse_complex_numIfEiEEvT1_PT0_PKS4_PKS3_
	.p2align	8
	.type	_ZN9rocsparseL25kernel_set_permuted_arrayILj512E21rocsparse_complex_numIfEiEEvT1_PT0_PKS4_PKS3_,@function
_ZN9rocsparseL25kernel_set_permuted_arrayILj512E21rocsparse_complex_numIfEiEEvT1_PT0_PKS4_PKS3_: ; @_ZN9rocsparseL25kernel_set_permuted_arrayILj512E21rocsparse_complex_numIfEiEEvT1_PT0_PKS4_PKS3_
; %bb.0:
	s_clause 0x1
	s_load_b32 s2, s[0:1], 0x2c
	s_load_b32 s3, s[0:1], 0x0
	s_bfe_u32 s4, ttmp6, 0x4000c
	s_and_b32 s5, ttmp6, 15
	s_add_co_i32 s4, s4, 1
	s_getreg_b32 s6, hwreg(HW_REG_IB_STS2, 6, 4)
	s_mul_i32 s4, ttmp9, s4
	s_delay_alu instid0(SALU_CYCLE_1) | instskip(SKIP_4) | instid1(SALU_CYCLE_1)
	s_add_co_i32 s5, s5, s4
	s_wait_kmcnt 0x0
	s_and_b32 s2, s2, 0xffff
	s_cmp_eq_u32 s6, 0
	s_cselect_b32 s4, ttmp9, s5
	v_mad_u32 v0, s4, s2, v0
	s_mov_b32 s2, exec_lo
	s_delay_alu instid0(VALU_DEP_1)
	v_cmpx_gt_i32_e64 s3, v0
	s_cbranch_execz .LBB35_2
; %bb.1:
	s_clause 0x1
	s_load_b64 s[2:3], s[0:1], 0x18
	s_load_b128 s[4:7], s[0:1], 0x8
	s_wait_kmcnt 0x0
	s_clause 0x1
	global_load_b32 v1, v0, s[2:3] scale_offset
	global_load_b64 v[2:3], v0, s[6:7] scale_offset
	s_wait_loadcnt 0x0
	global_store_b64 v1, v[2:3], s[4:5] scale_offset
.LBB35_2:
	s_endpgm
	.section	.rodata,"a",@progbits
	.p2align	6, 0x0
	.amdhsa_kernel _ZN9rocsparseL25kernel_set_permuted_arrayILj512E21rocsparse_complex_numIfEiEEvT1_PT0_PKS4_PKS3_
		.amdhsa_group_segment_fixed_size 0
		.amdhsa_private_segment_fixed_size 0
		.amdhsa_kernarg_size 288
		.amdhsa_user_sgpr_count 2
		.amdhsa_user_sgpr_dispatch_ptr 0
		.amdhsa_user_sgpr_queue_ptr 0
		.amdhsa_user_sgpr_kernarg_segment_ptr 1
		.amdhsa_user_sgpr_dispatch_id 0
		.amdhsa_user_sgpr_kernarg_preload_length 0
		.amdhsa_user_sgpr_kernarg_preload_offset 0
		.amdhsa_user_sgpr_private_segment_size 0
		.amdhsa_wavefront_size32 1
		.amdhsa_uses_dynamic_stack 0
		.amdhsa_enable_private_segment 0
		.amdhsa_system_sgpr_workgroup_id_x 1
		.amdhsa_system_sgpr_workgroup_id_y 0
		.amdhsa_system_sgpr_workgroup_id_z 0
		.amdhsa_system_sgpr_workgroup_info 0
		.amdhsa_system_vgpr_workitem_id 0
		.amdhsa_next_free_vgpr 4
		.amdhsa_next_free_sgpr 8
		.amdhsa_named_barrier_count 0
		.amdhsa_reserve_vcc 0
		.amdhsa_float_round_mode_32 0
		.amdhsa_float_round_mode_16_64 0
		.amdhsa_float_denorm_mode_32 3
		.amdhsa_float_denorm_mode_16_64 3
		.amdhsa_fp16_overflow 0
		.amdhsa_memory_ordered 1
		.amdhsa_forward_progress 1
		.amdhsa_inst_pref_size 2
		.amdhsa_round_robin_scheduling 0
		.amdhsa_exception_fp_ieee_invalid_op 0
		.amdhsa_exception_fp_denorm_src 0
		.amdhsa_exception_fp_ieee_div_zero 0
		.amdhsa_exception_fp_ieee_overflow 0
		.amdhsa_exception_fp_ieee_underflow 0
		.amdhsa_exception_fp_ieee_inexact 0
		.amdhsa_exception_int_div_zero 0
	.end_amdhsa_kernel
	.section	.text._ZN9rocsparseL25kernel_set_permuted_arrayILj512E21rocsparse_complex_numIfEiEEvT1_PT0_PKS4_PKS3_,"axG",@progbits,_ZN9rocsparseL25kernel_set_permuted_arrayILj512E21rocsparse_complex_numIfEiEEvT1_PT0_PKS4_PKS3_,comdat
.Lfunc_end35:
	.size	_ZN9rocsparseL25kernel_set_permuted_arrayILj512E21rocsparse_complex_numIfEiEEvT1_PT0_PKS4_PKS3_, .Lfunc_end35-_ZN9rocsparseL25kernel_set_permuted_arrayILj512E21rocsparse_complex_numIfEiEEvT1_PT0_PKS4_PKS3_
                                        ; -- End function
	.set _ZN9rocsparseL25kernel_set_permuted_arrayILj512E21rocsparse_complex_numIfEiEEvT1_PT0_PKS4_PKS3_.num_vgpr, 4
	.set _ZN9rocsparseL25kernel_set_permuted_arrayILj512E21rocsparse_complex_numIfEiEEvT1_PT0_PKS4_PKS3_.num_agpr, 0
	.set _ZN9rocsparseL25kernel_set_permuted_arrayILj512E21rocsparse_complex_numIfEiEEvT1_PT0_PKS4_PKS3_.numbered_sgpr, 8
	.set _ZN9rocsparseL25kernel_set_permuted_arrayILj512E21rocsparse_complex_numIfEiEEvT1_PT0_PKS4_PKS3_.num_named_barrier, 0
	.set _ZN9rocsparseL25kernel_set_permuted_arrayILj512E21rocsparse_complex_numIfEiEEvT1_PT0_PKS4_PKS3_.private_seg_size, 0
	.set _ZN9rocsparseL25kernel_set_permuted_arrayILj512E21rocsparse_complex_numIfEiEEvT1_PT0_PKS4_PKS3_.uses_vcc, 0
	.set _ZN9rocsparseL25kernel_set_permuted_arrayILj512E21rocsparse_complex_numIfEiEEvT1_PT0_PKS4_PKS3_.uses_flat_scratch, 0
	.set _ZN9rocsparseL25kernel_set_permuted_arrayILj512E21rocsparse_complex_numIfEiEEvT1_PT0_PKS4_PKS3_.has_dyn_sized_stack, 0
	.set _ZN9rocsparseL25kernel_set_permuted_arrayILj512E21rocsparse_complex_numIfEiEEvT1_PT0_PKS4_PKS3_.has_recursion, 0
	.set _ZN9rocsparseL25kernel_set_permuted_arrayILj512E21rocsparse_complex_numIfEiEEvT1_PT0_PKS4_PKS3_.has_indirect_call, 0
	.section	.AMDGPU.csdata,"",@progbits
; Kernel info:
; codeLenInByte = 172
; TotalNumSgprs: 8
; NumVgprs: 4
; ScratchSize: 0
; MemoryBound: 0
; FloatMode: 240
; IeeeMode: 1
; LDSByteSize: 0 bytes/workgroup (compile time only)
; SGPRBlocks: 0
; VGPRBlocks: 0
; NumSGPRsForWavesPerEU: 8
; NumVGPRsForWavesPerEU: 4
; NamedBarCnt: 0
; Occupancy: 16
; WaveLimiterHint : 1
; COMPUTE_PGM_RSRC2:SCRATCH_EN: 0
; COMPUTE_PGM_RSRC2:USER_SGPR: 2
; COMPUTE_PGM_RSRC2:TRAP_HANDLER: 0
; COMPUTE_PGM_RSRC2:TGID_X_EN: 1
; COMPUTE_PGM_RSRC2:TGID_Y_EN: 0
; COMPUTE_PGM_RSRC2:TGID_Z_EN: 0
; COMPUTE_PGM_RSRC2:TIDIG_COMP_CNT: 0
	.section	.text._ZN9rocsparseL25kernel_set_identity_arrayILj512E21rocsparse_complex_numIdEiEEvT1_PT0_,"axG",@progbits,_ZN9rocsparseL25kernel_set_identity_arrayILj512E21rocsparse_complex_numIdEiEEvT1_PT0_,comdat
	.globl	_ZN9rocsparseL25kernel_set_identity_arrayILj512E21rocsparse_complex_numIdEiEEvT1_PT0_ ; -- Begin function _ZN9rocsparseL25kernel_set_identity_arrayILj512E21rocsparse_complex_numIdEiEEvT1_PT0_
	.p2align	8
	.type	_ZN9rocsparseL25kernel_set_identity_arrayILj512E21rocsparse_complex_numIdEiEEvT1_PT0_,@function
_ZN9rocsparseL25kernel_set_identity_arrayILj512E21rocsparse_complex_numIdEiEEvT1_PT0_: ; @_ZN9rocsparseL25kernel_set_identity_arrayILj512E21rocsparse_complex_numIdEiEEvT1_PT0_
; %bb.0:
	s_clause 0x1
	s_load_b32 s2, s[0:1], 0x1c
	s_load_b32 s3, s[0:1], 0x0
	s_bfe_u32 s4, ttmp6, 0x4000c
	s_and_b32 s5, ttmp6, 15
	s_add_co_i32 s4, s4, 1
	s_getreg_b32 s6, hwreg(HW_REG_IB_STS2, 6, 4)
	s_mul_i32 s4, ttmp9, s4
	s_delay_alu instid0(SALU_CYCLE_1) | instskip(SKIP_4) | instid1(SALU_CYCLE_1)
	s_add_co_i32 s5, s5, s4
	s_wait_kmcnt 0x0
	s_and_b32 s2, s2, 0xffff
	s_cmp_eq_u32 s6, 0
	s_cselect_b32 s4, ttmp9, s5
	v_mad_u32 v0, s4, s2, v0
	s_mov_b32 s2, exec_lo
	s_delay_alu instid0(VALU_DEP_1)
	v_cmpx_gt_i32_e64 s3, v0
	s_cbranch_execz .LBB36_2
; %bb.1:
	s_load_b64 s[0:1], s[0:1], 0x8
	v_dual_mov_b32 v2, 0 :: v_dual_mov_b32 v3, 0x3ff00000
	s_delay_alu instid0(VALU_DEP_1)
	v_dual_mov_b32 v4, v2 :: v_dual_mov_b32 v5, v2
	s_wait_kmcnt 0x0
	global_store_b128 v0, v[2:5], s[0:1] scale_offset
.LBB36_2:
	s_endpgm
	.section	.rodata,"a",@progbits
	.p2align	6, 0x0
	.amdhsa_kernel _ZN9rocsparseL25kernel_set_identity_arrayILj512E21rocsparse_complex_numIdEiEEvT1_PT0_
		.amdhsa_group_segment_fixed_size 0
		.amdhsa_private_segment_fixed_size 0
		.amdhsa_kernarg_size 272
		.amdhsa_user_sgpr_count 2
		.amdhsa_user_sgpr_dispatch_ptr 0
		.amdhsa_user_sgpr_queue_ptr 0
		.amdhsa_user_sgpr_kernarg_segment_ptr 1
		.amdhsa_user_sgpr_dispatch_id 0
		.amdhsa_user_sgpr_kernarg_preload_length 0
		.amdhsa_user_sgpr_kernarg_preload_offset 0
		.amdhsa_user_sgpr_private_segment_size 0
		.amdhsa_wavefront_size32 1
		.amdhsa_uses_dynamic_stack 0
		.amdhsa_enable_private_segment 0
		.amdhsa_system_sgpr_workgroup_id_x 1
		.amdhsa_system_sgpr_workgroup_id_y 0
		.amdhsa_system_sgpr_workgroup_id_z 0
		.amdhsa_system_sgpr_workgroup_info 0
		.amdhsa_system_vgpr_workitem_id 0
		.amdhsa_next_free_vgpr 6
		.amdhsa_next_free_sgpr 7
		.amdhsa_named_barrier_count 0
		.amdhsa_reserve_vcc 0
		.amdhsa_float_round_mode_32 0
		.amdhsa_float_round_mode_16_64 0
		.amdhsa_float_denorm_mode_32 3
		.amdhsa_float_denorm_mode_16_64 3
		.amdhsa_fp16_overflow 0
		.amdhsa_memory_ordered 1
		.amdhsa_forward_progress 1
		.amdhsa_inst_pref_size 2
		.amdhsa_round_robin_scheduling 0
		.amdhsa_exception_fp_ieee_invalid_op 0
		.amdhsa_exception_fp_denorm_src 0
		.amdhsa_exception_fp_ieee_div_zero 0
		.amdhsa_exception_fp_ieee_overflow 0
		.amdhsa_exception_fp_ieee_underflow 0
		.amdhsa_exception_fp_ieee_inexact 0
		.amdhsa_exception_int_div_zero 0
	.end_amdhsa_kernel
	.section	.text._ZN9rocsparseL25kernel_set_identity_arrayILj512E21rocsparse_complex_numIdEiEEvT1_PT0_,"axG",@progbits,_ZN9rocsparseL25kernel_set_identity_arrayILj512E21rocsparse_complex_numIdEiEEvT1_PT0_,comdat
.Lfunc_end36:
	.size	_ZN9rocsparseL25kernel_set_identity_arrayILj512E21rocsparse_complex_numIdEiEEvT1_PT0_, .Lfunc_end36-_ZN9rocsparseL25kernel_set_identity_arrayILj512E21rocsparse_complex_numIdEiEEvT1_PT0_
                                        ; -- End function
	.set _ZN9rocsparseL25kernel_set_identity_arrayILj512E21rocsparse_complex_numIdEiEEvT1_PT0_.num_vgpr, 6
	.set _ZN9rocsparseL25kernel_set_identity_arrayILj512E21rocsparse_complex_numIdEiEEvT1_PT0_.num_agpr, 0
	.set _ZN9rocsparseL25kernel_set_identity_arrayILj512E21rocsparse_complex_numIdEiEEvT1_PT0_.numbered_sgpr, 7
	.set _ZN9rocsparseL25kernel_set_identity_arrayILj512E21rocsparse_complex_numIdEiEEvT1_PT0_.num_named_barrier, 0
	.set _ZN9rocsparseL25kernel_set_identity_arrayILj512E21rocsparse_complex_numIdEiEEvT1_PT0_.private_seg_size, 0
	.set _ZN9rocsparseL25kernel_set_identity_arrayILj512E21rocsparse_complex_numIdEiEEvT1_PT0_.uses_vcc, 0
	.set _ZN9rocsparseL25kernel_set_identity_arrayILj512E21rocsparse_complex_numIdEiEEvT1_PT0_.uses_flat_scratch, 0
	.set _ZN9rocsparseL25kernel_set_identity_arrayILj512E21rocsparse_complex_numIdEiEEvT1_PT0_.has_dyn_sized_stack, 0
	.set _ZN9rocsparseL25kernel_set_identity_arrayILj512E21rocsparse_complex_numIdEiEEvT1_PT0_.has_recursion, 0
	.set _ZN9rocsparseL25kernel_set_identity_arrayILj512E21rocsparse_complex_numIdEiEEvT1_PT0_.has_indirect_call, 0
	.section	.AMDGPU.csdata,"",@progbits
; Kernel info:
; codeLenInByte = 152
; TotalNumSgprs: 7
; NumVgprs: 6
; ScratchSize: 0
; MemoryBound: 0
; FloatMode: 240
; IeeeMode: 1
; LDSByteSize: 0 bytes/workgroup (compile time only)
; SGPRBlocks: 0
; VGPRBlocks: 0
; NumSGPRsForWavesPerEU: 7
; NumVGPRsForWavesPerEU: 6
; NamedBarCnt: 0
; Occupancy: 16
; WaveLimiterHint : 0
; COMPUTE_PGM_RSRC2:SCRATCH_EN: 0
; COMPUTE_PGM_RSRC2:USER_SGPR: 2
; COMPUTE_PGM_RSRC2:TRAP_HANDLER: 0
; COMPUTE_PGM_RSRC2:TGID_X_EN: 1
; COMPUTE_PGM_RSRC2:TGID_Y_EN: 0
; COMPUTE_PGM_RSRC2:TGID_Z_EN: 0
; COMPUTE_PGM_RSRC2:TIDIG_COMP_CNT: 0
	.section	.text._ZN9rocsparseL25kernel_get_permuted_arrayILj512E21rocsparse_complex_numIdEiEEvT1_PKT0_PS4_PKS3_,"axG",@progbits,_ZN9rocsparseL25kernel_get_permuted_arrayILj512E21rocsparse_complex_numIdEiEEvT1_PKT0_PS4_PKS3_,comdat
	.globl	_ZN9rocsparseL25kernel_get_permuted_arrayILj512E21rocsparse_complex_numIdEiEEvT1_PKT0_PS4_PKS3_ ; -- Begin function _ZN9rocsparseL25kernel_get_permuted_arrayILj512E21rocsparse_complex_numIdEiEEvT1_PKT0_PS4_PKS3_
	.p2align	8
	.type	_ZN9rocsparseL25kernel_get_permuted_arrayILj512E21rocsparse_complex_numIdEiEEvT1_PKT0_PS4_PKS3_,@function
_ZN9rocsparseL25kernel_get_permuted_arrayILj512E21rocsparse_complex_numIdEiEEvT1_PKT0_PS4_PKS3_: ; @_ZN9rocsparseL25kernel_get_permuted_arrayILj512E21rocsparse_complex_numIdEiEEvT1_PKT0_PS4_PKS3_
; %bb.0:
	s_clause 0x1
	s_load_b32 s2, s[0:1], 0x2c
	s_load_b32 s3, s[0:1], 0x0
	s_bfe_u32 s4, ttmp6, 0x4000c
	s_and_b32 s5, ttmp6, 15
	s_add_co_i32 s4, s4, 1
	s_getreg_b32 s6, hwreg(HW_REG_IB_STS2, 6, 4)
	s_mul_i32 s4, ttmp9, s4
	s_delay_alu instid0(SALU_CYCLE_1) | instskip(SKIP_4) | instid1(SALU_CYCLE_1)
	s_add_co_i32 s5, s5, s4
	s_wait_kmcnt 0x0
	s_and_b32 s2, s2, 0xffff
	s_cmp_eq_u32 s6, 0
	s_cselect_b32 s4, ttmp9, s5
	v_mad_u32 v0, s4, s2, v0
	s_mov_b32 s2, exec_lo
	s_delay_alu instid0(VALU_DEP_1)
	v_cmpx_gt_i32_e64 s3, v0
	s_cbranch_execz .LBB37_2
; %bb.1:
	s_clause 0x1
	s_load_b64 s[2:3], s[0:1], 0x18
	s_load_b128 s[4:7], s[0:1], 0x8
	s_wait_kmcnt 0x0
	global_load_b32 v1, v0, s[2:3] scale_offset
	s_wait_loadcnt 0x0
	global_load_b128 v[2:5], v1, s[4:5] scale_offset
	s_wait_loadcnt 0x0
	global_store_b128 v0, v[2:5], s[6:7] scale_offset
.LBB37_2:
	s_endpgm
	.section	.rodata,"a",@progbits
	.p2align	6, 0x0
	.amdhsa_kernel _ZN9rocsparseL25kernel_get_permuted_arrayILj512E21rocsparse_complex_numIdEiEEvT1_PKT0_PS4_PKS3_
		.amdhsa_group_segment_fixed_size 0
		.amdhsa_private_segment_fixed_size 0
		.amdhsa_kernarg_size 288
		.amdhsa_user_sgpr_count 2
		.amdhsa_user_sgpr_dispatch_ptr 0
		.amdhsa_user_sgpr_queue_ptr 0
		.amdhsa_user_sgpr_kernarg_segment_ptr 1
		.amdhsa_user_sgpr_dispatch_id 0
		.amdhsa_user_sgpr_kernarg_preload_length 0
		.amdhsa_user_sgpr_kernarg_preload_offset 0
		.amdhsa_user_sgpr_private_segment_size 0
		.amdhsa_wavefront_size32 1
		.amdhsa_uses_dynamic_stack 0
		.amdhsa_enable_private_segment 0
		.amdhsa_system_sgpr_workgroup_id_x 1
		.amdhsa_system_sgpr_workgroup_id_y 0
		.amdhsa_system_sgpr_workgroup_id_z 0
		.amdhsa_system_sgpr_workgroup_info 0
		.amdhsa_system_vgpr_workitem_id 0
		.amdhsa_next_free_vgpr 6
		.amdhsa_next_free_sgpr 8
		.amdhsa_named_barrier_count 0
		.amdhsa_reserve_vcc 0
		.amdhsa_float_round_mode_32 0
		.amdhsa_float_round_mode_16_64 0
		.amdhsa_float_denorm_mode_32 3
		.amdhsa_float_denorm_mode_16_64 3
		.amdhsa_fp16_overflow 0
		.amdhsa_memory_ordered 1
		.amdhsa_forward_progress 1
		.amdhsa_inst_pref_size 2
		.amdhsa_round_robin_scheduling 0
		.amdhsa_exception_fp_ieee_invalid_op 0
		.amdhsa_exception_fp_denorm_src 0
		.amdhsa_exception_fp_ieee_div_zero 0
		.amdhsa_exception_fp_ieee_overflow 0
		.amdhsa_exception_fp_ieee_underflow 0
		.amdhsa_exception_fp_ieee_inexact 0
		.amdhsa_exception_int_div_zero 0
	.end_amdhsa_kernel
	.section	.text._ZN9rocsparseL25kernel_get_permuted_arrayILj512E21rocsparse_complex_numIdEiEEvT1_PKT0_PS4_PKS3_,"axG",@progbits,_ZN9rocsparseL25kernel_get_permuted_arrayILj512E21rocsparse_complex_numIdEiEEvT1_PKT0_PS4_PKS3_,comdat
.Lfunc_end37:
	.size	_ZN9rocsparseL25kernel_get_permuted_arrayILj512E21rocsparse_complex_numIdEiEEvT1_PKT0_PS4_PKS3_, .Lfunc_end37-_ZN9rocsparseL25kernel_get_permuted_arrayILj512E21rocsparse_complex_numIdEiEEvT1_PKT0_PS4_PKS3_
                                        ; -- End function
	.set _ZN9rocsparseL25kernel_get_permuted_arrayILj512E21rocsparse_complex_numIdEiEEvT1_PKT0_PS4_PKS3_.num_vgpr, 6
	.set _ZN9rocsparseL25kernel_get_permuted_arrayILj512E21rocsparse_complex_numIdEiEEvT1_PKT0_PS4_PKS3_.num_agpr, 0
	.set _ZN9rocsparseL25kernel_get_permuted_arrayILj512E21rocsparse_complex_numIdEiEEvT1_PKT0_PS4_PKS3_.numbered_sgpr, 8
	.set _ZN9rocsparseL25kernel_get_permuted_arrayILj512E21rocsparse_complex_numIdEiEEvT1_PKT0_PS4_PKS3_.num_named_barrier, 0
	.set _ZN9rocsparseL25kernel_get_permuted_arrayILj512E21rocsparse_complex_numIdEiEEvT1_PKT0_PS4_PKS3_.private_seg_size, 0
	.set _ZN9rocsparseL25kernel_get_permuted_arrayILj512E21rocsparse_complex_numIdEiEEvT1_PKT0_PS4_PKS3_.uses_vcc, 0
	.set _ZN9rocsparseL25kernel_get_permuted_arrayILj512E21rocsparse_complex_numIdEiEEvT1_PKT0_PS4_PKS3_.uses_flat_scratch, 0
	.set _ZN9rocsparseL25kernel_get_permuted_arrayILj512E21rocsparse_complex_numIdEiEEvT1_PKT0_PS4_PKS3_.has_dyn_sized_stack, 0
	.set _ZN9rocsparseL25kernel_get_permuted_arrayILj512E21rocsparse_complex_numIdEiEEvT1_PKT0_PS4_PKS3_.has_recursion, 0
	.set _ZN9rocsparseL25kernel_get_permuted_arrayILj512E21rocsparse_complex_numIdEiEEvT1_PKT0_PS4_PKS3_.has_indirect_call, 0
	.section	.AMDGPU.csdata,"",@progbits
; Kernel info:
; codeLenInByte = 172
; TotalNumSgprs: 8
; NumVgprs: 6
; ScratchSize: 0
; MemoryBound: 0
; FloatMode: 240
; IeeeMode: 1
; LDSByteSize: 0 bytes/workgroup (compile time only)
; SGPRBlocks: 0
; VGPRBlocks: 0
; NumSGPRsForWavesPerEU: 8
; NumVGPRsForWavesPerEU: 6
; NamedBarCnt: 0
; Occupancy: 16
; WaveLimiterHint : 0
; COMPUTE_PGM_RSRC2:SCRATCH_EN: 0
; COMPUTE_PGM_RSRC2:USER_SGPR: 2
; COMPUTE_PGM_RSRC2:TRAP_HANDLER: 0
; COMPUTE_PGM_RSRC2:TGID_X_EN: 1
; COMPUTE_PGM_RSRC2:TGID_Y_EN: 0
; COMPUTE_PGM_RSRC2:TGID_Z_EN: 0
; COMPUTE_PGM_RSRC2:TIDIG_COMP_CNT: 0
	.section	.text._ZN9rocsparseL25kernel_set_permuted_arrayILj512E21rocsparse_complex_numIdEiEEvT1_PT0_PKS4_PKS3_,"axG",@progbits,_ZN9rocsparseL25kernel_set_permuted_arrayILj512E21rocsparse_complex_numIdEiEEvT1_PT0_PKS4_PKS3_,comdat
	.globl	_ZN9rocsparseL25kernel_set_permuted_arrayILj512E21rocsparse_complex_numIdEiEEvT1_PT0_PKS4_PKS3_ ; -- Begin function _ZN9rocsparseL25kernel_set_permuted_arrayILj512E21rocsparse_complex_numIdEiEEvT1_PT0_PKS4_PKS3_
	.p2align	8
	.type	_ZN9rocsparseL25kernel_set_permuted_arrayILj512E21rocsparse_complex_numIdEiEEvT1_PT0_PKS4_PKS3_,@function
_ZN9rocsparseL25kernel_set_permuted_arrayILj512E21rocsparse_complex_numIdEiEEvT1_PT0_PKS4_PKS3_: ; @_ZN9rocsparseL25kernel_set_permuted_arrayILj512E21rocsparse_complex_numIdEiEEvT1_PT0_PKS4_PKS3_
; %bb.0:
	s_clause 0x1
	s_load_b32 s2, s[0:1], 0x2c
	s_load_b32 s3, s[0:1], 0x0
	s_bfe_u32 s4, ttmp6, 0x4000c
	s_and_b32 s5, ttmp6, 15
	s_add_co_i32 s4, s4, 1
	s_getreg_b32 s6, hwreg(HW_REG_IB_STS2, 6, 4)
	s_mul_i32 s4, ttmp9, s4
	s_delay_alu instid0(SALU_CYCLE_1) | instskip(SKIP_4) | instid1(SALU_CYCLE_1)
	s_add_co_i32 s5, s5, s4
	s_wait_kmcnt 0x0
	s_and_b32 s2, s2, 0xffff
	s_cmp_eq_u32 s6, 0
	s_cselect_b32 s4, ttmp9, s5
	v_mad_u32 v0, s4, s2, v0
	s_mov_b32 s2, exec_lo
	s_delay_alu instid0(VALU_DEP_1)
	v_cmpx_gt_i32_e64 s3, v0
	s_cbranch_execz .LBB38_2
; %bb.1:
	s_clause 0x1
	s_load_b64 s[2:3], s[0:1], 0x18
	s_load_b128 s[4:7], s[0:1], 0x8
	s_wait_kmcnt 0x0
	s_clause 0x1
	global_load_b32 v1, v0, s[2:3] scale_offset
	global_load_b128 v[2:5], v0, s[6:7] scale_offset
	s_wait_loadcnt 0x0
	global_store_b128 v1, v[2:5], s[4:5] scale_offset
.LBB38_2:
	s_endpgm
	.section	.rodata,"a",@progbits
	.p2align	6, 0x0
	.amdhsa_kernel _ZN9rocsparseL25kernel_set_permuted_arrayILj512E21rocsparse_complex_numIdEiEEvT1_PT0_PKS4_PKS3_
		.amdhsa_group_segment_fixed_size 0
		.amdhsa_private_segment_fixed_size 0
		.amdhsa_kernarg_size 288
		.amdhsa_user_sgpr_count 2
		.amdhsa_user_sgpr_dispatch_ptr 0
		.amdhsa_user_sgpr_queue_ptr 0
		.amdhsa_user_sgpr_kernarg_segment_ptr 1
		.amdhsa_user_sgpr_dispatch_id 0
		.amdhsa_user_sgpr_kernarg_preload_length 0
		.amdhsa_user_sgpr_kernarg_preload_offset 0
		.amdhsa_user_sgpr_private_segment_size 0
		.amdhsa_wavefront_size32 1
		.amdhsa_uses_dynamic_stack 0
		.amdhsa_enable_private_segment 0
		.amdhsa_system_sgpr_workgroup_id_x 1
		.amdhsa_system_sgpr_workgroup_id_y 0
		.amdhsa_system_sgpr_workgroup_id_z 0
		.amdhsa_system_sgpr_workgroup_info 0
		.amdhsa_system_vgpr_workitem_id 0
		.amdhsa_next_free_vgpr 6
		.amdhsa_next_free_sgpr 8
		.amdhsa_named_barrier_count 0
		.amdhsa_reserve_vcc 0
		.amdhsa_float_round_mode_32 0
		.amdhsa_float_round_mode_16_64 0
		.amdhsa_float_denorm_mode_32 3
		.amdhsa_float_denorm_mode_16_64 3
		.amdhsa_fp16_overflow 0
		.amdhsa_memory_ordered 1
		.amdhsa_forward_progress 1
		.amdhsa_inst_pref_size 2
		.amdhsa_round_robin_scheduling 0
		.amdhsa_exception_fp_ieee_invalid_op 0
		.amdhsa_exception_fp_denorm_src 0
		.amdhsa_exception_fp_ieee_div_zero 0
		.amdhsa_exception_fp_ieee_overflow 0
		.amdhsa_exception_fp_ieee_underflow 0
		.amdhsa_exception_fp_ieee_inexact 0
		.amdhsa_exception_int_div_zero 0
	.end_amdhsa_kernel
	.section	.text._ZN9rocsparseL25kernel_set_permuted_arrayILj512E21rocsparse_complex_numIdEiEEvT1_PT0_PKS4_PKS3_,"axG",@progbits,_ZN9rocsparseL25kernel_set_permuted_arrayILj512E21rocsparse_complex_numIdEiEEvT1_PT0_PKS4_PKS3_,comdat
.Lfunc_end38:
	.size	_ZN9rocsparseL25kernel_set_permuted_arrayILj512E21rocsparse_complex_numIdEiEEvT1_PT0_PKS4_PKS3_, .Lfunc_end38-_ZN9rocsparseL25kernel_set_permuted_arrayILj512E21rocsparse_complex_numIdEiEEvT1_PT0_PKS4_PKS3_
                                        ; -- End function
	.set _ZN9rocsparseL25kernel_set_permuted_arrayILj512E21rocsparse_complex_numIdEiEEvT1_PT0_PKS4_PKS3_.num_vgpr, 6
	.set _ZN9rocsparseL25kernel_set_permuted_arrayILj512E21rocsparse_complex_numIdEiEEvT1_PT0_PKS4_PKS3_.num_agpr, 0
	.set _ZN9rocsparseL25kernel_set_permuted_arrayILj512E21rocsparse_complex_numIdEiEEvT1_PT0_PKS4_PKS3_.numbered_sgpr, 8
	.set _ZN9rocsparseL25kernel_set_permuted_arrayILj512E21rocsparse_complex_numIdEiEEvT1_PT0_PKS4_PKS3_.num_named_barrier, 0
	.set _ZN9rocsparseL25kernel_set_permuted_arrayILj512E21rocsparse_complex_numIdEiEEvT1_PT0_PKS4_PKS3_.private_seg_size, 0
	.set _ZN9rocsparseL25kernel_set_permuted_arrayILj512E21rocsparse_complex_numIdEiEEvT1_PT0_PKS4_PKS3_.uses_vcc, 0
	.set _ZN9rocsparseL25kernel_set_permuted_arrayILj512E21rocsparse_complex_numIdEiEEvT1_PT0_PKS4_PKS3_.uses_flat_scratch, 0
	.set _ZN9rocsparseL25kernel_set_permuted_arrayILj512E21rocsparse_complex_numIdEiEEvT1_PT0_PKS4_PKS3_.has_dyn_sized_stack, 0
	.set _ZN9rocsparseL25kernel_set_permuted_arrayILj512E21rocsparse_complex_numIdEiEEvT1_PT0_PKS4_PKS3_.has_recursion, 0
	.set _ZN9rocsparseL25kernel_set_permuted_arrayILj512E21rocsparse_complex_numIdEiEEvT1_PT0_PKS4_PKS3_.has_indirect_call, 0
	.section	.AMDGPU.csdata,"",@progbits
; Kernel info:
; codeLenInByte = 172
; TotalNumSgprs: 8
; NumVgprs: 6
; ScratchSize: 0
; MemoryBound: 0
; FloatMode: 240
; IeeeMode: 1
; LDSByteSize: 0 bytes/workgroup (compile time only)
; SGPRBlocks: 0
; VGPRBlocks: 0
; NumSGPRsForWavesPerEU: 8
; NumVGPRsForWavesPerEU: 6
; NamedBarCnt: 0
; Occupancy: 16
; WaveLimiterHint : 1
; COMPUTE_PGM_RSRC2:SCRATCH_EN: 0
; COMPUTE_PGM_RSRC2:USER_SGPR: 2
; COMPUTE_PGM_RSRC2:TRAP_HANDLER: 0
; COMPUTE_PGM_RSRC2:TGID_X_EN: 1
; COMPUTE_PGM_RSRC2:TGID_Y_EN: 0
; COMPUTE_PGM_RSRC2:TGID_Z_EN: 0
; COMPUTE_PGM_RSRC2:TIDIG_COMP_CNT: 0
	.section	.text._ZN9rocsparseL25kernel_set_identity_arrayILj1024EllEEvT1_PT0_,"axG",@progbits,_ZN9rocsparseL25kernel_set_identity_arrayILj1024EllEEvT1_PT0_,comdat
	.globl	_ZN9rocsparseL25kernel_set_identity_arrayILj1024EllEEvT1_PT0_ ; -- Begin function _ZN9rocsparseL25kernel_set_identity_arrayILj1024EllEEvT1_PT0_
	.p2align	8
	.type	_ZN9rocsparseL25kernel_set_identity_arrayILj1024EllEEvT1_PT0_,@function
_ZN9rocsparseL25kernel_set_identity_arrayILj1024EllEEvT1_PT0_: ; @_ZN9rocsparseL25kernel_set_identity_arrayILj1024EllEEvT1_PT0_
; %bb.0:
	s_clause 0x1
	s_load_b32 s2, s[0:1], 0x1c
	s_load_b128 s[4:7], s[0:1], 0x0
	s_wait_xcnt 0x0
	s_bfe_u32 s0, ttmp6, 0x4000c
	s_and_b32 s1, ttmp6, 15
	s_add_co_i32 s0, s0, 1
	s_getreg_b32 s3, hwreg(HW_REG_IB_STS2, 6, 4)
	s_mul_i32 s0, ttmp9, s0
	v_mov_b32_e32 v1, 0
	s_add_co_i32 s1, s1, s0
	s_wait_kmcnt 0x0
	s_and_b32 s2, s2, 0xffff
	s_cmp_eq_u32 s3, 0
	s_cselect_b32 s0, ttmp9, s1
	s_delay_alu instid0(SALU_CYCLE_1) | instskip(SKIP_1) | instid1(VALU_DEP_1)
	v_mad_u32 v0, s0, s2, v0
	s_mov_b32 s0, exec_lo
	v_cmpx_gt_i64_e64 s[4:5], v[0:1]
	s_cbranch_execz .LBB39_2
; %bb.1:
	v_mov_b64_e32 v[2:3], 1
	v_lshl_add_u64 v[0:1], v[0:1], 3, s[6:7]
	global_store_b64 v[0:1], v[2:3], off
.LBB39_2:
	s_endpgm
	.section	.rodata,"a",@progbits
	.p2align	6, 0x0
	.amdhsa_kernel _ZN9rocsparseL25kernel_set_identity_arrayILj1024EllEEvT1_PT0_
		.amdhsa_group_segment_fixed_size 0
		.amdhsa_private_segment_fixed_size 0
		.amdhsa_kernarg_size 272
		.amdhsa_user_sgpr_count 2
		.amdhsa_user_sgpr_dispatch_ptr 0
		.amdhsa_user_sgpr_queue_ptr 0
		.amdhsa_user_sgpr_kernarg_segment_ptr 1
		.amdhsa_user_sgpr_dispatch_id 0
		.amdhsa_user_sgpr_kernarg_preload_length 0
		.amdhsa_user_sgpr_kernarg_preload_offset 0
		.amdhsa_user_sgpr_private_segment_size 0
		.amdhsa_wavefront_size32 1
		.amdhsa_uses_dynamic_stack 0
		.amdhsa_enable_private_segment 0
		.amdhsa_system_sgpr_workgroup_id_x 1
		.amdhsa_system_sgpr_workgroup_id_y 0
		.amdhsa_system_sgpr_workgroup_id_z 0
		.amdhsa_system_sgpr_workgroup_info 0
		.amdhsa_system_vgpr_workitem_id 0
		.amdhsa_next_free_vgpr 4
		.amdhsa_next_free_sgpr 8
		.amdhsa_named_barrier_count 0
		.amdhsa_reserve_vcc 0
		.amdhsa_float_round_mode_32 0
		.amdhsa_float_round_mode_16_64 0
		.amdhsa_float_denorm_mode_32 3
		.amdhsa_float_denorm_mode_16_64 3
		.amdhsa_fp16_overflow 0
		.amdhsa_memory_ordered 1
		.amdhsa_forward_progress 1
		.amdhsa_inst_pref_size 2
		.amdhsa_round_robin_scheduling 0
		.amdhsa_exception_fp_ieee_invalid_op 0
		.amdhsa_exception_fp_denorm_src 0
		.amdhsa_exception_fp_ieee_div_zero 0
		.amdhsa_exception_fp_ieee_overflow 0
		.amdhsa_exception_fp_ieee_underflow 0
		.amdhsa_exception_fp_ieee_inexact 0
		.amdhsa_exception_int_div_zero 0
	.end_amdhsa_kernel
	.section	.text._ZN9rocsparseL25kernel_set_identity_arrayILj1024EllEEvT1_PT0_,"axG",@progbits,_ZN9rocsparseL25kernel_set_identity_arrayILj1024EllEEvT1_PT0_,comdat
.Lfunc_end39:
	.size	_ZN9rocsparseL25kernel_set_identity_arrayILj1024EllEEvT1_PT0_, .Lfunc_end39-_ZN9rocsparseL25kernel_set_identity_arrayILj1024EllEEvT1_PT0_
                                        ; -- End function
	.set _ZN9rocsparseL25kernel_set_identity_arrayILj1024EllEEvT1_PT0_.num_vgpr, 4
	.set _ZN9rocsparseL25kernel_set_identity_arrayILj1024EllEEvT1_PT0_.num_agpr, 0
	.set _ZN9rocsparseL25kernel_set_identity_arrayILj1024EllEEvT1_PT0_.numbered_sgpr, 8
	.set _ZN9rocsparseL25kernel_set_identity_arrayILj1024EllEEvT1_PT0_.num_named_barrier, 0
	.set _ZN9rocsparseL25kernel_set_identity_arrayILj1024EllEEvT1_PT0_.private_seg_size, 0
	.set _ZN9rocsparseL25kernel_set_identity_arrayILj1024EllEEvT1_PT0_.uses_vcc, 0
	.set _ZN9rocsparseL25kernel_set_identity_arrayILj1024EllEEvT1_PT0_.uses_flat_scratch, 0
	.set _ZN9rocsparseL25kernel_set_identity_arrayILj1024EllEEvT1_PT0_.has_dyn_sized_stack, 0
	.set _ZN9rocsparseL25kernel_set_identity_arrayILj1024EllEEvT1_PT0_.has_recursion, 0
	.set _ZN9rocsparseL25kernel_set_identity_arrayILj1024EllEEvT1_PT0_.has_indirect_call, 0
	.section	.AMDGPU.csdata,"",@progbits
; Kernel info:
; codeLenInByte = 132
; TotalNumSgprs: 8
; NumVgprs: 4
; ScratchSize: 0
; MemoryBound: 0
; FloatMode: 240
; IeeeMode: 1
; LDSByteSize: 0 bytes/workgroup (compile time only)
; SGPRBlocks: 0
; VGPRBlocks: 0
; NumSGPRsForWavesPerEU: 8
; NumVGPRsForWavesPerEU: 4
; NamedBarCnt: 0
; Occupancy: 16
; WaveLimiterHint : 0
; COMPUTE_PGM_RSRC2:SCRATCH_EN: 0
; COMPUTE_PGM_RSRC2:USER_SGPR: 2
; COMPUTE_PGM_RSRC2:TRAP_HANDLER: 0
; COMPUTE_PGM_RSRC2:TGID_X_EN: 1
; COMPUTE_PGM_RSRC2:TGID_Y_EN: 0
; COMPUTE_PGM_RSRC2:TGID_Z_EN: 0
; COMPUTE_PGM_RSRC2:TIDIG_COMP_CNT: 0
	.section	.text._ZN9rocsparseL25kernel_get_permuted_arrayILj1024EllEEvT1_PKT0_PS2_PKS1_,"axG",@progbits,_ZN9rocsparseL25kernel_get_permuted_arrayILj1024EllEEvT1_PKT0_PS2_PKS1_,comdat
	.globl	_ZN9rocsparseL25kernel_get_permuted_arrayILj1024EllEEvT1_PKT0_PS2_PKS1_ ; -- Begin function _ZN9rocsparseL25kernel_get_permuted_arrayILj1024EllEEvT1_PKT0_PS2_PKS1_
	.p2align	8
	.type	_ZN9rocsparseL25kernel_get_permuted_arrayILj1024EllEEvT1_PKT0_PS2_PKS1_,@function
_ZN9rocsparseL25kernel_get_permuted_arrayILj1024EllEEvT1_PKT0_PS2_PKS1_: ; @_ZN9rocsparseL25kernel_get_permuted_arrayILj1024EllEEvT1_PKT0_PS2_PKS1_
; %bb.0:
	s_load_b32 s2, s[0:1], 0x2c
	s_bfe_u32 s12, ttmp6, 0x4000c
	s_load_b256 s[4:11], s[0:1], 0x0
	s_add_co_i32 s12, s12, 1
	s_and_b32 s3, ttmp6, 15
	s_wait_xcnt 0x0
	s_mul_i32 s1, ttmp9, s12
	s_getreg_b32 s0, hwreg(HW_REG_IB_STS2, 6, 4)
	s_add_co_i32 s3, s3, s1
	v_mov_b32_e32 v1, 0
	s_wait_kmcnt 0x0
	s_and_b32 s2, s2, 0xffff
	s_cmp_eq_u32 s0, 0
	s_cselect_b32 s0, ttmp9, s3
	s_delay_alu instid0(SALU_CYCLE_1) | instskip(SKIP_1) | instid1(VALU_DEP_1)
	v_mad_u32 v0, s0, s2, v0
	s_mov_b32 s0, exec_lo
	v_cmpx_gt_i64_e64 s[4:5], v[0:1]
	s_cbranch_execz .LBB40_2
; %bb.1:
	v_lshlrev_b64_e32 v[0:1], 3, v[0:1]
	s_delay_alu instid0(VALU_DEP_1)
	v_add_nc_u64_e32 v[2:3], s[10:11], v[0:1]
	v_add_nc_u64_e32 v[0:1], s[8:9], v[0:1]
	global_load_b64 v[2:3], v[2:3], off
	s_wait_loadcnt 0x0
	v_lshl_add_u64 v[2:3], v[2:3], 3, s[6:7]
	global_load_b64 v[2:3], v[2:3], off
	s_wait_loadcnt 0x0
	global_store_b64 v[0:1], v[2:3], off
.LBB40_2:
	s_endpgm
	.section	.rodata,"a",@progbits
	.p2align	6, 0x0
	.amdhsa_kernel _ZN9rocsparseL25kernel_get_permuted_arrayILj1024EllEEvT1_PKT0_PS2_PKS1_
		.amdhsa_group_segment_fixed_size 0
		.amdhsa_private_segment_fixed_size 0
		.amdhsa_kernarg_size 288
		.amdhsa_user_sgpr_count 2
		.amdhsa_user_sgpr_dispatch_ptr 0
		.amdhsa_user_sgpr_queue_ptr 0
		.amdhsa_user_sgpr_kernarg_segment_ptr 1
		.amdhsa_user_sgpr_dispatch_id 0
		.amdhsa_user_sgpr_kernarg_preload_length 0
		.amdhsa_user_sgpr_kernarg_preload_offset 0
		.amdhsa_user_sgpr_private_segment_size 0
		.amdhsa_wavefront_size32 1
		.amdhsa_uses_dynamic_stack 0
		.amdhsa_enable_private_segment 0
		.amdhsa_system_sgpr_workgroup_id_x 1
		.amdhsa_system_sgpr_workgroup_id_y 0
		.amdhsa_system_sgpr_workgroup_id_z 0
		.amdhsa_system_sgpr_workgroup_info 0
		.amdhsa_system_vgpr_workitem_id 0
		.amdhsa_next_free_vgpr 4
		.amdhsa_next_free_sgpr 13
		.amdhsa_named_barrier_count 0
		.amdhsa_reserve_vcc 0
		.amdhsa_float_round_mode_32 0
		.amdhsa_float_round_mode_16_64 0
		.amdhsa_float_denorm_mode_32 3
		.amdhsa_float_denorm_mode_16_64 3
		.amdhsa_fp16_overflow 0
		.amdhsa_memory_ordered 1
		.amdhsa_forward_progress 1
		.amdhsa_inst_pref_size 2
		.amdhsa_round_robin_scheduling 0
		.amdhsa_exception_fp_ieee_invalid_op 0
		.amdhsa_exception_fp_denorm_src 0
		.amdhsa_exception_fp_ieee_div_zero 0
		.amdhsa_exception_fp_ieee_overflow 0
		.amdhsa_exception_fp_ieee_underflow 0
		.amdhsa_exception_fp_ieee_inexact 0
		.amdhsa_exception_int_div_zero 0
	.end_amdhsa_kernel
	.section	.text._ZN9rocsparseL25kernel_get_permuted_arrayILj1024EllEEvT1_PKT0_PS2_PKS1_,"axG",@progbits,_ZN9rocsparseL25kernel_get_permuted_arrayILj1024EllEEvT1_PKT0_PS2_PKS1_,comdat
.Lfunc_end40:
	.size	_ZN9rocsparseL25kernel_get_permuted_arrayILj1024EllEEvT1_PKT0_PS2_PKS1_, .Lfunc_end40-_ZN9rocsparseL25kernel_get_permuted_arrayILj1024EllEEvT1_PKT0_PS2_PKS1_
                                        ; -- End function
	.set _ZN9rocsparseL25kernel_get_permuted_arrayILj1024EllEEvT1_PKT0_PS2_PKS1_.num_vgpr, 4
	.set _ZN9rocsparseL25kernel_get_permuted_arrayILj1024EllEEvT1_PKT0_PS2_PKS1_.num_agpr, 0
	.set _ZN9rocsparseL25kernel_get_permuted_arrayILj1024EllEEvT1_PKT0_PS2_PKS1_.numbered_sgpr, 13
	.set _ZN9rocsparseL25kernel_get_permuted_arrayILj1024EllEEvT1_PKT0_PS2_PKS1_.num_named_barrier, 0
	.set _ZN9rocsparseL25kernel_get_permuted_arrayILj1024EllEEvT1_PKT0_PS2_PKS1_.private_seg_size, 0
	.set _ZN9rocsparseL25kernel_get_permuted_arrayILj1024EllEEvT1_PKT0_PS2_PKS1_.uses_vcc, 0
	.set _ZN9rocsparseL25kernel_get_permuted_arrayILj1024EllEEvT1_PKT0_PS2_PKS1_.uses_flat_scratch, 0
	.set _ZN9rocsparseL25kernel_get_permuted_arrayILj1024EllEEvT1_PKT0_PS2_PKS1_.has_dyn_sized_stack, 0
	.set _ZN9rocsparseL25kernel_get_permuted_arrayILj1024EllEEvT1_PKT0_PS2_PKS1_.has_recursion, 0
	.set _ZN9rocsparseL25kernel_get_permuted_arrayILj1024EllEEvT1_PKT0_PS2_PKS1_.has_indirect_call, 0
	.section	.AMDGPU.csdata,"",@progbits
; Kernel info:
; codeLenInByte = 172
; TotalNumSgprs: 13
; NumVgprs: 4
; ScratchSize: 0
; MemoryBound: 0
; FloatMode: 240
; IeeeMode: 1
; LDSByteSize: 0 bytes/workgroup (compile time only)
; SGPRBlocks: 0
; VGPRBlocks: 0
; NumSGPRsForWavesPerEU: 13
; NumVGPRsForWavesPerEU: 4
; NamedBarCnt: 0
; Occupancy: 16
; WaveLimiterHint : 1
; COMPUTE_PGM_RSRC2:SCRATCH_EN: 0
; COMPUTE_PGM_RSRC2:USER_SGPR: 2
; COMPUTE_PGM_RSRC2:TRAP_HANDLER: 0
; COMPUTE_PGM_RSRC2:TGID_X_EN: 1
; COMPUTE_PGM_RSRC2:TGID_Y_EN: 0
; COMPUTE_PGM_RSRC2:TGID_Z_EN: 0
; COMPUTE_PGM_RSRC2:TIDIG_COMP_CNT: 0
	.section	.text._ZN9rocsparseL25kernel_set_permuted_arrayILj1024EllEEvT1_PT0_PKS2_PKS1_,"axG",@progbits,_ZN9rocsparseL25kernel_set_permuted_arrayILj1024EllEEvT1_PT0_PKS2_PKS1_,comdat
	.globl	_ZN9rocsparseL25kernel_set_permuted_arrayILj1024EllEEvT1_PT0_PKS2_PKS1_ ; -- Begin function _ZN9rocsparseL25kernel_set_permuted_arrayILj1024EllEEvT1_PT0_PKS2_PKS1_
	.p2align	8
	.type	_ZN9rocsparseL25kernel_set_permuted_arrayILj1024EllEEvT1_PT0_PKS2_PKS1_,@function
_ZN9rocsparseL25kernel_set_permuted_arrayILj1024EllEEvT1_PT0_PKS2_PKS1_: ; @_ZN9rocsparseL25kernel_set_permuted_arrayILj1024EllEEvT1_PT0_PKS2_PKS1_
; %bb.0:
	s_load_b32 s2, s[0:1], 0x2c
	s_bfe_u32 s12, ttmp6, 0x4000c
	s_load_b256 s[4:11], s[0:1], 0x0
	s_add_co_i32 s12, s12, 1
	s_and_b32 s3, ttmp6, 15
	s_wait_xcnt 0x0
	s_mul_i32 s1, ttmp9, s12
	s_getreg_b32 s0, hwreg(HW_REG_IB_STS2, 6, 4)
	s_add_co_i32 s3, s3, s1
	v_mov_b32_e32 v1, 0
	s_wait_kmcnt 0x0
	s_and_b32 s2, s2, 0xffff
	s_cmp_eq_u32 s0, 0
	s_cselect_b32 s0, ttmp9, s3
	s_delay_alu instid0(SALU_CYCLE_1) | instskip(SKIP_1) | instid1(VALU_DEP_1)
	v_mad_u32 v0, s0, s2, v0
	s_mov_b32 s0, exec_lo
	v_cmpx_gt_i64_e64 s[4:5], v[0:1]
	s_cbranch_execz .LBB41_2
; %bb.1:
	v_lshlrev_b64_e32 v[0:1], 3, v[0:1]
	s_delay_alu instid0(VALU_DEP_1)
	v_add_nc_u64_e32 v[2:3], s[10:11], v[0:1]
	v_add_nc_u64_e32 v[0:1], s[8:9], v[0:1]
	global_load_b64 v[4:5], v[2:3], off
	global_load_b64 v[6:7], v[0:1], off
	s_wait_loadcnt 0x1
	s_wait_xcnt 0x0
	v_lshl_add_u64 v[0:1], v[4:5], 3, s[6:7]
	s_wait_loadcnt 0x0
	global_store_b64 v[0:1], v[6:7], off
.LBB41_2:
	s_endpgm
	.section	.rodata,"a",@progbits
	.p2align	6, 0x0
	.amdhsa_kernel _ZN9rocsparseL25kernel_set_permuted_arrayILj1024EllEEvT1_PT0_PKS2_PKS1_
		.amdhsa_group_segment_fixed_size 0
		.amdhsa_private_segment_fixed_size 0
		.amdhsa_kernarg_size 288
		.amdhsa_user_sgpr_count 2
		.amdhsa_user_sgpr_dispatch_ptr 0
		.amdhsa_user_sgpr_queue_ptr 0
		.amdhsa_user_sgpr_kernarg_segment_ptr 1
		.amdhsa_user_sgpr_dispatch_id 0
		.amdhsa_user_sgpr_kernarg_preload_length 0
		.amdhsa_user_sgpr_kernarg_preload_offset 0
		.amdhsa_user_sgpr_private_segment_size 0
		.amdhsa_wavefront_size32 1
		.amdhsa_uses_dynamic_stack 0
		.amdhsa_enable_private_segment 0
		.amdhsa_system_sgpr_workgroup_id_x 1
		.amdhsa_system_sgpr_workgroup_id_y 0
		.amdhsa_system_sgpr_workgroup_id_z 0
		.amdhsa_system_sgpr_workgroup_info 0
		.amdhsa_system_vgpr_workitem_id 0
		.amdhsa_next_free_vgpr 8
		.amdhsa_next_free_sgpr 13
		.amdhsa_named_barrier_count 0
		.amdhsa_reserve_vcc 0
		.amdhsa_float_round_mode_32 0
		.amdhsa_float_round_mode_16_64 0
		.amdhsa_float_denorm_mode_32 3
		.amdhsa_float_denorm_mode_16_64 3
		.amdhsa_fp16_overflow 0
		.amdhsa_memory_ordered 1
		.amdhsa_forward_progress 1
		.amdhsa_inst_pref_size 2
		.amdhsa_round_robin_scheduling 0
		.amdhsa_exception_fp_ieee_invalid_op 0
		.amdhsa_exception_fp_denorm_src 0
		.amdhsa_exception_fp_ieee_div_zero 0
		.amdhsa_exception_fp_ieee_overflow 0
		.amdhsa_exception_fp_ieee_underflow 0
		.amdhsa_exception_fp_ieee_inexact 0
		.amdhsa_exception_int_div_zero 0
	.end_amdhsa_kernel
	.section	.text._ZN9rocsparseL25kernel_set_permuted_arrayILj1024EllEEvT1_PT0_PKS2_PKS1_,"axG",@progbits,_ZN9rocsparseL25kernel_set_permuted_arrayILj1024EllEEvT1_PT0_PKS2_PKS1_,comdat
.Lfunc_end41:
	.size	_ZN9rocsparseL25kernel_set_permuted_arrayILj1024EllEEvT1_PT0_PKS2_PKS1_, .Lfunc_end41-_ZN9rocsparseL25kernel_set_permuted_arrayILj1024EllEEvT1_PT0_PKS2_PKS1_
                                        ; -- End function
	.set _ZN9rocsparseL25kernel_set_permuted_arrayILj1024EllEEvT1_PT0_PKS2_PKS1_.num_vgpr, 8
	.set _ZN9rocsparseL25kernel_set_permuted_arrayILj1024EllEEvT1_PT0_PKS2_PKS1_.num_agpr, 0
	.set _ZN9rocsparseL25kernel_set_permuted_arrayILj1024EllEEvT1_PT0_PKS2_PKS1_.numbered_sgpr, 13
	.set _ZN9rocsparseL25kernel_set_permuted_arrayILj1024EllEEvT1_PT0_PKS2_PKS1_.num_named_barrier, 0
	.set _ZN9rocsparseL25kernel_set_permuted_arrayILj1024EllEEvT1_PT0_PKS2_PKS1_.private_seg_size, 0
	.set _ZN9rocsparseL25kernel_set_permuted_arrayILj1024EllEEvT1_PT0_PKS2_PKS1_.uses_vcc, 0
	.set _ZN9rocsparseL25kernel_set_permuted_arrayILj1024EllEEvT1_PT0_PKS2_PKS1_.uses_flat_scratch, 0
	.set _ZN9rocsparseL25kernel_set_permuted_arrayILj1024EllEEvT1_PT0_PKS2_PKS1_.has_dyn_sized_stack, 0
	.set _ZN9rocsparseL25kernel_set_permuted_arrayILj1024EllEEvT1_PT0_PKS2_PKS1_.has_recursion, 0
	.set _ZN9rocsparseL25kernel_set_permuted_arrayILj1024EllEEvT1_PT0_PKS2_PKS1_.has_indirect_call, 0
	.section	.AMDGPU.csdata,"",@progbits
; Kernel info:
; codeLenInByte = 176
; TotalNumSgprs: 13
; NumVgprs: 8
; ScratchSize: 0
; MemoryBound: 0
; FloatMode: 240
; IeeeMode: 1
; LDSByteSize: 0 bytes/workgroup (compile time only)
; SGPRBlocks: 0
; VGPRBlocks: 0
; NumSGPRsForWavesPerEU: 13
; NumVGPRsForWavesPerEU: 8
; NamedBarCnt: 0
; Occupancy: 16
; WaveLimiterHint : 1
; COMPUTE_PGM_RSRC2:SCRATCH_EN: 0
; COMPUTE_PGM_RSRC2:USER_SGPR: 2
; COMPUTE_PGM_RSRC2:TRAP_HANDLER: 0
; COMPUTE_PGM_RSRC2:TGID_X_EN: 1
; COMPUTE_PGM_RSRC2:TGID_Y_EN: 0
; COMPUTE_PGM_RSRC2:TGID_Z_EN: 0
; COMPUTE_PGM_RSRC2:TIDIG_COMP_CNT: 0
	.section	.text._ZN9rocsparseL25kernel_set_identity_arrayILj1024EflEEvT1_PT0_,"axG",@progbits,_ZN9rocsparseL25kernel_set_identity_arrayILj1024EflEEvT1_PT0_,comdat
	.globl	_ZN9rocsparseL25kernel_set_identity_arrayILj1024EflEEvT1_PT0_ ; -- Begin function _ZN9rocsparseL25kernel_set_identity_arrayILj1024EflEEvT1_PT0_
	.p2align	8
	.type	_ZN9rocsparseL25kernel_set_identity_arrayILj1024EflEEvT1_PT0_,@function
_ZN9rocsparseL25kernel_set_identity_arrayILj1024EflEEvT1_PT0_: ; @_ZN9rocsparseL25kernel_set_identity_arrayILj1024EflEEvT1_PT0_
; %bb.0:
	s_clause 0x1
	s_load_b32 s2, s[0:1], 0x1c
	s_load_b128 s[4:7], s[0:1], 0x0
	s_wait_xcnt 0x0
	s_bfe_u32 s0, ttmp6, 0x4000c
	s_and_b32 s1, ttmp6, 15
	s_add_co_i32 s0, s0, 1
	s_getreg_b32 s3, hwreg(HW_REG_IB_STS2, 6, 4)
	s_mul_i32 s0, ttmp9, s0
	v_mov_b32_e32 v1, 0
	s_add_co_i32 s1, s1, s0
	s_wait_kmcnt 0x0
	s_and_b32 s2, s2, 0xffff
	s_cmp_eq_u32 s3, 0
	s_cselect_b32 s0, ttmp9, s1
	s_delay_alu instid0(SALU_CYCLE_1) | instskip(SKIP_1) | instid1(VALU_DEP_1)
	v_mad_u32 v0, s0, s2, v0
	s_mov_b32 s0, exec_lo
	v_cmpx_gt_i64_e64 s[4:5], v[0:1]
	s_cbranch_execz .LBB42_2
; %bb.1:
	v_lshl_add_u64 v[0:1], v[0:1], 2, s[6:7]
	v_mov_b32_e32 v2, 1.0
	global_store_b32 v[0:1], v2, off
.LBB42_2:
	s_endpgm
	.section	.rodata,"a",@progbits
	.p2align	6, 0x0
	.amdhsa_kernel _ZN9rocsparseL25kernel_set_identity_arrayILj1024EflEEvT1_PT0_
		.amdhsa_group_segment_fixed_size 0
		.amdhsa_private_segment_fixed_size 0
		.amdhsa_kernarg_size 272
		.amdhsa_user_sgpr_count 2
		.amdhsa_user_sgpr_dispatch_ptr 0
		.amdhsa_user_sgpr_queue_ptr 0
		.amdhsa_user_sgpr_kernarg_segment_ptr 1
		.amdhsa_user_sgpr_dispatch_id 0
		.amdhsa_user_sgpr_kernarg_preload_length 0
		.amdhsa_user_sgpr_kernarg_preload_offset 0
		.amdhsa_user_sgpr_private_segment_size 0
		.amdhsa_wavefront_size32 1
		.amdhsa_uses_dynamic_stack 0
		.amdhsa_enable_private_segment 0
		.amdhsa_system_sgpr_workgroup_id_x 1
		.amdhsa_system_sgpr_workgroup_id_y 0
		.amdhsa_system_sgpr_workgroup_id_z 0
		.amdhsa_system_sgpr_workgroup_info 0
		.amdhsa_system_vgpr_workitem_id 0
		.amdhsa_next_free_vgpr 3
		.amdhsa_next_free_sgpr 8
		.amdhsa_named_barrier_count 0
		.amdhsa_reserve_vcc 0
		.amdhsa_float_round_mode_32 0
		.amdhsa_float_round_mode_16_64 0
		.amdhsa_float_denorm_mode_32 3
		.amdhsa_float_denorm_mode_16_64 3
		.amdhsa_fp16_overflow 0
		.amdhsa_memory_ordered 1
		.amdhsa_forward_progress 1
		.amdhsa_inst_pref_size 2
		.amdhsa_round_robin_scheduling 0
		.amdhsa_exception_fp_ieee_invalid_op 0
		.amdhsa_exception_fp_denorm_src 0
		.amdhsa_exception_fp_ieee_div_zero 0
		.amdhsa_exception_fp_ieee_overflow 0
		.amdhsa_exception_fp_ieee_underflow 0
		.amdhsa_exception_fp_ieee_inexact 0
		.amdhsa_exception_int_div_zero 0
	.end_amdhsa_kernel
	.section	.text._ZN9rocsparseL25kernel_set_identity_arrayILj1024EflEEvT1_PT0_,"axG",@progbits,_ZN9rocsparseL25kernel_set_identity_arrayILj1024EflEEvT1_PT0_,comdat
.Lfunc_end42:
	.size	_ZN9rocsparseL25kernel_set_identity_arrayILj1024EflEEvT1_PT0_, .Lfunc_end42-_ZN9rocsparseL25kernel_set_identity_arrayILj1024EflEEvT1_PT0_
                                        ; -- End function
	.set _ZN9rocsparseL25kernel_set_identity_arrayILj1024EflEEvT1_PT0_.num_vgpr, 3
	.set _ZN9rocsparseL25kernel_set_identity_arrayILj1024EflEEvT1_PT0_.num_agpr, 0
	.set _ZN9rocsparseL25kernel_set_identity_arrayILj1024EflEEvT1_PT0_.numbered_sgpr, 8
	.set _ZN9rocsparseL25kernel_set_identity_arrayILj1024EflEEvT1_PT0_.num_named_barrier, 0
	.set _ZN9rocsparseL25kernel_set_identity_arrayILj1024EflEEvT1_PT0_.private_seg_size, 0
	.set _ZN9rocsparseL25kernel_set_identity_arrayILj1024EflEEvT1_PT0_.uses_vcc, 0
	.set _ZN9rocsparseL25kernel_set_identity_arrayILj1024EflEEvT1_PT0_.uses_flat_scratch, 0
	.set _ZN9rocsparseL25kernel_set_identity_arrayILj1024EflEEvT1_PT0_.has_dyn_sized_stack, 0
	.set _ZN9rocsparseL25kernel_set_identity_arrayILj1024EflEEvT1_PT0_.has_recursion, 0
	.set _ZN9rocsparseL25kernel_set_identity_arrayILj1024EflEEvT1_PT0_.has_indirect_call, 0
	.section	.AMDGPU.csdata,"",@progbits
; Kernel info:
; codeLenInByte = 132
; TotalNumSgprs: 8
; NumVgprs: 3
; ScratchSize: 0
; MemoryBound: 0
; FloatMode: 240
; IeeeMode: 1
; LDSByteSize: 0 bytes/workgroup (compile time only)
; SGPRBlocks: 0
; VGPRBlocks: 0
; NumSGPRsForWavesPerEU: 8
; NumVGPRsForWavesPerEU: 3
; NamedBarCnt: 0
; Occupancy: 16
; WaveLimiterHint : 0
; COMPUTE_PGM_RSRC2:SCRATCH_EN: 0
; COMPUTE_PGM_RSRC2:USER_SGPR: 2
; COMPUTE_PGM_RSRC2:TRAP_HANDLER: 0
; COMPUTE_PGM_RSRC2:TGID_X_EN: 1
; COMPUTE_PGM_RSRC2:TGID_Y_EN: 0
; COMPUTE_PGM_RSRC2:TGID_Z_EN: 0
; COMPUTE_PGM_RSRC2:TIDIG_COMP_CNT: 0
	.section	.text._ZN9rocsparseL25kernel_get_permuted_arrayILj1024EflEEvT1_PKT0_PS2_PKS1_,"axG",@progbits,_ZN9rocsparseL25kernel_get_permuted_arrayILj1024EflEEvT1_PKT0_PS2_PKS1_,comdat
	.globl	_ZN9rocsparseL25kernel_get_permuted_arrayILj1024EflEEvT1_PKT0_PS2_PKS1_ ; -- Begin function _ZN9rocsparseL25kernel_get_permuted_arrayILj1024EflEEvT1_PKT0_PS2_PKS1_
	.p2align	8
	.type	_ZN9rocsparseL25kernel_get_permuted_arrayILj1024EflEEvT1_PKT0_PS2_PKS1_,@function
_ZN9rocsparseL25kernel_get_permuted_arrayILj1024EflEEvT1_PKT0_PS2_PKS1_: ; @_ZN9rocsparseL25kernel_get_permuted_arrayILj1024EflEEvT1_PKT0_PS2_PKS1_
; %bb.0:
	s_load_b32 s2, s[0:1], 0x2c
	s_bfe_u32 s12, ttmp6, 0x4000c
	s_load_b256 s[4:11], s[0:1], 0x0
	s_add_co_i32 s12, s12, 1
	s_and_b32 s3, ttmp6, 15
	s_wait_xcnt 0x0
	s_mul_i32 s1, ttmp9, s12
	s_getreg_b32 s0, hwreg(HW_REG_IB_STS2, 6, 4)
	s_add_co_i32 s3, s3, s1
	v_mov_b32_e32 v1, 0
	s_wait_kmcnt 0x0
	s_and_b32 s2, s2, 0xffff
	s_cmp_eq_u32 s0, 0
	s_cselect_b32 s0, ttmp9, s3
	s_delay_alu instid0(SALU_CYCLE_1) | instskip(SKIP_1) | instid1(VALU_DEP_1)
	v_mad_u32 v0, s0, s2, v0
	s_mov_b32 s0, exec_lo
	v_cmpx_gt_i64_e64 s[4:5], v[0:1]
	s_cbranch_execz .LBB43_2
; %bb.1:
	v_lshl_add_u64 v[2:3], v[0:1], 3, s[10:11]
	v_lshl_add_u64 v[0:1], v[0:1], 2, s[8:9]
	global_load_b64 v[2:3], v[2:3], off
	s_wait_loadcnt 0x0
	v_lshl_add_u64 v[2:3], v[2:3], 2, s[6:7]
	global_load_b32 v2, v[2:3], off
	s_wait_loadcnt 0x0
	global_store_b32 v[0:1], v2, off
.LBB43_2:
	s_endpgm
	.section	.rodata,"a",@progbits
	.p2align	6, 0x0
	.amdhsa_kernel _ZN9rocsparseL25kernel_get_permuted_arrayILj1024EflEEvT1_PKT0_PS2_PKS1_
		.amdhsa_group_segment_fixed_size 0
		.amdhsa_private_segment_fixed_size 0
		.amdhsa_kernarg_size 288
		.amdhsa_user_sgpr_count 2
		.amdhsa_user_sgpr_dispatch_ptr 0
		.amdhsa_user_sgpr_queue_ptr 0
		.amdhsa_user_sgpr_kernarg_segment_ptr 1
		.amdhsa_user_sgpr_dispatch_id 0
		.amdhsa_user_sgpr_kernarg_preload_length 0
		.amdhsa_user_sgpr_kernarg_preload_offset 0
		.amdhsa_user_sgpr_private_segment_size 0
		.amdhsa_wavefront_size32 1
		.amdhsa_uses_dynamic_stack 0
		.amdhsa_enable_private_segment 0
		.amdhsa_system_sgpr_workgroup_id_x 1
		.amdhsa_system_sgpr_workgroup_id_y 0
		.amdhsa_system_sgpr_workgroup_id_z 0
		.amdhsa_system_sgpr_workgroup_info 0
		.amdhsa_system_vgpr_workitem_id 0
		.amdhsa_next_free_vgpr 4
		.amdhsa_next_free_sgpr 13
		.amdhsa_named_barrier_count 0
		.amdhsa_reserve_vcc 0
		.amdhsa_float_round_mode_32 0
		.amdhsa_float_round_mode_16_64 0
		.amdhsa_float_denorm_mode_32 3
		.amdhsa_float_denorm_mode_16_64 3
		.amdhsa_fp16_overflow 0
		.amdhsa_memory_ordered 1
		.amdhsa_forward_progress 1
		.amdhsa_inst_pref_size 2
		.amdhsa_round_robin_scheduling 0
		.amdhsa_exception_fp_ieee_invalid_op 0
		.amdhsa_exception_fp_denorm_src 0
		.amdhsa_exception_fp_ieee_div_zero 0
		.amdhsa_exception_fp_ieee_overflow 0
		.amdhsa_exception_fp_ieee_underflow 0
		.amdhsa_exception_fp_ieee_inexact 0
		.amdhsa_exception_int_div_zero 0
	.end_amdhsa_kernel
	.section	.text._ZN9rocsparseL25kernel_get_permuted_arrayILj1024EflEEvT1_PKT0_PS2_PKS1_,"axG",@progbits,_ZN9rocsparseL25kernel_get_permuted_arrayILj1024EflEEvT1_PKT0_PS2_PKS1_,comdat
.Lfunc_end43:
	.size	_ZN9rocsparseL25kernel_get_permuted_arrayILj1024EflEEvT1_PKT0_PS2_PKS1_, .Lfunc_end43-_ZN9rocsparseL25kernel_get_permuted_arrayILj1024EflEEvT1_PKT0_PS2_PKS1_
                                        ; -- End function
	.set _ZN9rocsparseL25kernel_get_permuted_arrayILj1024EflEEvT1_PKT0_PS2_PKS1_.num_vgpr, 4
	.set _ZN9rocsparseL25kernel_get_permuted_arrayILj1024EflEEvT1_PKT0_PS2_PKS1_.num_agpr, 0
	.set _ZN9rocsparseL25kernel_get_permuted_arrayILj1024EflEEvT1_PKT0_PS2_PKS1_.numbered_sgpr, 13
	.set _ZN9rocsparseL25kernel_get_permuted_arrayILj1024EflEEvT1_PKT0_PS2_PKS1_.num_named_barrier, 0
	.set _ZN9rocsparseL25kernel_get_permuted_arrayILj1024EflEEvT1_PKT0_PS2_PKS1_.private_seg_size, 0
	.set _ZN9rocsparseL25kernel_get_permuted_arrayILj1024EflEEvT1_PKT0_PS2_PKS1_.uses_vcc, 0
	.set _ZN9rocsparseL25kernel_get_permuted_arrayILj1024EflEEvT1_PKT0_PS2_PKS1_.uses_flat_scratch, 0
	.set _ZN9rocsparseL25kernel_get_permuted_arrayILj1024EflEEvT1_PKT0_PS2_PKS1_.has_dyn_sized_stack, 0
	.set _ZN9rocsparseL25kernel_get_permuted_arrayILj1024EflEEvT1_PKT0_PS2_PKS1_.has_recursion, 0
	.set _ZN9rocsparseL25kernel_get_permuted_arrayILj1024EflEEvT1_PKT0_PS2_PKS1_.has_indirect_call, 0
	.section	.AMDGPU.csdata,"",@progbits
; Kernel info:
; codeLenInByte = 172
; TotalNumSgprs: 13
; NumVgprs: 4
; ScratchSize: 0
; MemoryBound: 0
; FloatMode: 240
; IeeeMode: 1
; LDSByteSize: 0 bytes/workgroup (compile time only)
; SGPRBlocks: 0
; VGPRBlocks: 0
; NumSGPRsForWavesPerEU: 13
; NumVGPRsForWavesPerEU: 4
; NamedBarCnt: 0
; Occupancy: 16
; WaveLimiterHint : 1
; COMPUTE_PGM_RSRC2:SCRATCH_EN: 0
; COMPUTE_PGM_RSRC2:USER_SGPR: 2
; COMPUTE_PGM_RSRC2:TRAP_HANDLER: 0
; COMPUTE_PGM_RSRC2:TGID_X_EN: 1
; COMPUTE_PGM_RSRC2:TGID_Y_EN: 0
; COMPUTE_PGM_RSRC2:TGID_Z_EN: 0
; COMPUTE_PGM_RSRC2:TIDIG_COMP_CNT: 0
	.section	.text._ZN9rocsparseL25kernel_set_permuted_arrayILj1024EflEEvT1_PT0_PKS2_PKS1_,"axG",@progbits,_ZN9rocsparseL25kernel_set_permuted_arrayILj1024EflEEvT1_PT0_PKS2_PKS1_,comdat
	.globl	_ZN9rocsparseL25kernel_set_permuted_arrayILj1024EflEEvT1_PT0_PKS2_PKS1_ ; -- Begin function _ZN9rocsparseL25kernel_set_permuted_arrayILj1024EflEEvT1_PT0_PKS2_PKS1_
	.p2align	8
	.type	_ZN9rocsparseL25kernel_set_permuted_arrayILj1024EflEEvT1_PT0_PKS2_PKS1_,@function
_ZN9rocsparseL25kernel_set_permuted_arrayILj1024EflEEvT1_PT0_PKS2_PKS1_: ; @_ZN9rocsparseL25kernel_set_permuted_arrayILj1024EflEEvT1_PT0_PKS2_PKS1_
; %bb.0:
	s_load_b32 s2, s[0:1], 0x2c
	s_bfe_u32 s12, ttmp6, 0x4000c
	s_load_b256 s[4:11], s[0:1], 0x0
	s_add_co_i32 s12, s12, 1
	s_and_b32 s3, ttmp6, 15
	s_wait_xcnt 0x0
	s_mul_i32 s1, ttmp9, s12
	s_getreg_b32 s0, hwreg(HW_REG_IB_STS2, 6, 4)
	s_add_co_i32 s3, s3, s1
	v_mov_b32_e32 v1, 0
	s_wait_kmcnt 0x0
	s_and_b32 s2, s2, 0xffff
	s_cmp_eq_u32 s0, 0
	s_cselect_b32 s0, ttmp9, s3
	s_delay_alu instid0(SALU_CYCLE_1) | instskip(SKIP_1) | instid1(VALU_DEP_1)
	v_mad_u32 v0, s0, s2, v0
	s_mov_b32 s0, exec_lo
	v_cmpx_gt_i64_e64 s[4:5], v[0:1]
	s_cbranch_execz .LBB44_2
; %bb.1:
	v_lshl_add_u64 v[2:3], v[0:1], 3, s[10:11]
	v_lshl_add_u64 v[0:1], v[0:1], 2, s[8:9]
	global_load_b64 v[4:5], v[2:3], off
	global_load_b32 v6, v[0:1], off
	s_wait_loadcnt 0x1
	s_wait_xcnt 0x0
	v_lshl_add_u64 v[0:1], v[4:5], 2, s[6:7]
	s_wait_loadcnt 0x0
	global_store_b32 v[0:1], v6, off
.LBB44_2:
	s_endpgm
	.section	.rodata,"a",@progbits
	.p2align	6, 0x0
	.amdhsa_kernel _ZN9rocsparseL25kernel_set_permuted_arrayILj1024EflEEvT1_PT0_PKS2_PKS1_
		.amdhsa_group_segment_fixed_size 0
		.amdhsa_private_segment_fixed_size 0
		.amdhsa_kernarg_size 288
		.amdhsa_user_sgpr_count 2
		.amdhsa_user_sgpr_dispatch_ptr 0
		.amdhsa_user_sgpr_queue_ptr 0
		.amdhsa_user_sgpr_kernarg_segment_ptr 1
		.amdhsa_user_sgpr_dispatch_id 0
		.amdhsa_user_sgpr_kernarg_preload_length 0
		.amdhsa_user_sgpr_kernarg_preload_offset 0
		.amdhsa_user_sgpr_private_segment_size 0
		.amdhsa_wavefront_size32 1
		.amdhsa_uses_dynamic_stack 0
		.amdhsa_enable_private_segment 0
		.amdhsa_system_sgpr_workgroup_id_x 1
		.amdhsa_system_sgpr_workgroup_id_y 0
		.amdhsa_system_sgpr_workgroup_id_z 0
		.amdhsa_system_sgpr_workgroup_info 0
		.amdhsa_system_vgpr_workitem_id 0
		.amdhsa_next_free_vgpr 7
		.amdhsa_next_free_sgpr 13
		.amdhsa_named_barrier_count 0
		.amdhsa_reserve_vcc 0
		.amdhsa_float_round_mode_32 0
		.amdhsa_float_round_mode_16_64 0
		.amdhsa_float_denorm_mode_32 3
		.amdhsa_float_denorm_mode_16_64 3
		.amdhsa_fp16_overflow 0
		.amdhsa_memory_ordered 1
		.amdhsa_forward_progress 1
		.amdhsa_inst_pref_size 2
		.amdhsa_round_robin_scheduling 0
		.amdhsa_exception_fp_ieee_invalid_op 0
		.amdhsa_exception_fp_denorm_src 0
		.amdhsa_exception_fp_ieee_div_zero 0
		.amdhsa_exception_fp_ieee_overflow 0
		.amdhsa_exception_fp_ieee_underflow 0
		.amdhsa_exception_fp_ieee_inexact 0
		.amdhsa_exception_int_div_zero 0
	.end_amdhsa_kernel
	.section	.text._ZN9rocsparseL25kernel_set_permuted_arrayILj1024EflEEvT1_PT0_PKS2_PKS1_,"axG",@progbits,_ZN9rocsparseL25kernel_set_permuted_arrayILj1024EflEEvT1_PT0_PKS2_PKS1_,comdat
.Lfunc_end44:
	.size	_ZN9rocsparseL25kernel_set_permuted_arrayILj1024EflEEvT1_PT0_PKS2_PKS1_, .Lfunc_end44-_ZN9rocsparseL25kernel_set_permuted_arrayILj1024EflEEvT1_PT0_PKS2_PKS1_
                                        ; -- End function
	.set _ZN9rocsparseL25kernel_set_permuted_arrayILj1024EflEEvT1_PT0_PKS2_PKS1_.num_vgpr, 7
	.set _ZN9rocsparseL25kernel_set_permuted_arrayILj1024EflEEvT1_PT0_PKS2_PKS1_.num_agpr, 0
	.set _ZN9rocsparseL25kernel_set_permuted_arrayILj1024EflEEvT1_PT0_PKS2_PKS1_.numbered_sgpr, 13
	.set _ZN9rocsparseL25kernel_set_permuted_arrayILj1024EflEEvT1_PT0_PKS2_PKS1_.num_named_barrier, 0
	.set _ZN9rocsparseL25kernel_set_permuted_arrayILj1024EflEEvT1_PT0_PKS2_PKS1_.private_seg_size, 0
	.set _ZN9rocsparseL25kernel_set_permuted_arrayILj1024EflEEvT1_PT0_PKS2_PKS1_.uses_vcc, 0
	.set _ZN9rocsparseL25kernel_set_permuted_arrayILj1024EflEEvT1_PT0_PKS2_PKS1_.uses_flat_scratch, 0
	.set _ZN9rocsparseL25kernel_set_permuted_arrayILj1024EflEEvT1_PT0_PKS2_PKS1_.has_dyn_sized_stack, 0
	.set _ZN9rocsparseL25kernel_set_permuted_arrayILj1024EflEEvT1_PT0_PKS2_PKS1_.has_recursion, 0
	.set _ZN9rocsparseL25kernel_set_permuted_arrayILj1024EflEEvT1_PT0_PKS2_PKS1_.has_indirect_call, 0
	.section	.AMDGPU.csdata,"",@progbits
; Kernel info:
; codeLenInByte = 176
; TotalNumSgprs: 13
; NumVgprs: 7
; ScratchSize: 0
; MemoryBound: 0
; FloatMode: 240
; IeeeMode: 1
; LDSByteSize: 0 bytes/workgroup (compile time only)
; SGPRBlocks: 0
; VGPRBlocks: 0
; NumSGPRsForWavesPerEU: 13
; NumVGPRsForWavesPerEU: 7
; NamedBarCnt: 0
; Occupancy: 16
; WaveLimiterHint : 1
; COMPUTE_PGM_RSRC2:SCRATCH_EN: 0
; COMPUTE_PGM_RSRC2:USER_SGPR: 2
; COMPUTE_PGM_RSRC2:TRAP_HANDLER: 0
; COMPUTE_PGM_RSRC2:TGID_X_EN: 1
; COMPUTE_PGM_RSRC2:TGID_Y_EN: 0
; COMPUTE_PGM_RSRC2:TGID_Z_EN: 0
; COMPUTE_PGM_RSRC2:TIDIG_COMP_CNT: 0
	.section	.text._ZN9rocsparseL25kernel_set_identity_arrayILj1024EdlEEvT1_PT0_,"axG",@progbits,_ZN9rocsparseL25kernel_set_identity_arrayILj1024EdlEEvT1_PT0_,comdat
	.globl	_ZN9rocsparseL25kernel_set_identity_arrayILj1024EdlEEvT1_PT0_ ; -- Begin function _ZN9rocsparseL25kernel_set_identity_arrayILj1024EdlEEvT1_PT0_
	.p2align	8
	.type	_ZN9rocsparseL25kernel_set_identity_arrayILj1024EdlEEvT1_PT0_,@function
_ZN9rocsparseL25kernel_set_identity_arrayILj1024EdlEEvT1_PT0_: ; @_ZN9rocsparseL25kernel_set_identity_arrayILj1024EdlEEvT1_PT0_
; %bb.0:
	s_clause 0x1
	s_load_b32 s2, s[0:1], 0x1c
	s_load_b128 s[4:7], s[0:1], 0x0
	s_wait_xcnt 0x0
	s_bfe_u32 s0, ttmp6, 0x4000c
	s_and_b32 s1, ttmp6, 15
	s_add_co_i32 s0, s0, 1
	s_getreg_b32 s3, hwreg(HW_REG_IB_STS2, 6, 4)
	s_mul_i32 s0, ttmp9, s0
	v_mov_b32_e32 v1, 0
	s_add_co_i32 s1, s1, s0
	s_wait_kmcnt 0x0
	s_and_b32 s2, s2, 0xffff
	s_cmp_eq_u32 s3, 0
	s_cselect_b32 s0, ttmp9, s1
	s_delay_alu instid0(SALU_CYCLE_1) | instskip(SKIP_1) | instid1(VALU_DEP_1)
	v_mad_u32 v0, s0, s2, v0
	s_mov_b32 s0, exec_lo
	v_cmpx_gt_i64_e64 s[4:5], v[0:1]
	s_cbranch_execz .LBB45_2
; %bb.1:
	v_mov_b64_e32 v[2:3], 1.0
	v_lshl_add_u64 v[0:1], v[0:1], 3, s[6:7]
	global_store_b64 v[0:1], v[2:3], off
.LBB45_2:
	s_endpgm
	.section	.rodata,"a",@progbits
	.p2align	6, 0x0
	.amdhsa_kernel _ZN9rocsparseL25kernel_set_identity_arrayILj1024EdlEEvT1_PT0_
		.amdhsa_group_segment_fixed_size 0
		.amdhsa_private_segment_fixed_size 0
		.amdhsa_kernarg_size 272
		.amdhsa_user_sgpr_count 2
		.amdhsa_user_sgpr_dispatch_ptr 0
		.amdhsa_user_sgpr_queue_ptr 0
		.amdhsa_user_sgpr_kernarg_segment_ptr 1
		.amdhsa_user_sgpr_dispatch_id 0
		.amdhsa_user_sgpr_kernarg_preload_length 0
		.amdhsa_user_sgpr_kernarg_preload_offset 0
		.amdhsa_user_sgpr_private_segment_size 0
		.amdhsa_wavefront_size32 1
		.amdhsa_uses_dynamic_stack 0
		.amdhsa_enable_private_segment 0
		.amdhsa_system_sgpr_workgroup_id_x 1
		.amdhsa_system_sgpr_workgroup_id_y 0
		.amdhsa_system_sgpr_workgroup_id_z 0
		.amdhsa_system_sgpr_workgroup_info 0
		.amdhsa_system_vgpr_workitem_id 0
		.amdhsa_next_free_vgpr 4
		.amdhsa_next_free_sgpr 8
		.amdhsa_named_barrier_count 0
		.amdhsa_reserve_vcc 0
		.amdhsa_float_round_mode_32 0
		.amdhsa_float_round_mode_16_64 0
		.amdhsa_float_denorm_mode_32 3
		.amdhsa_float_denorm_mode_16_64 3
		.amdhsa_fp16_overflow 0
		.amdhsa_memory_ordered 1
		.amdhsa_forward_progress 1
		.amdhsa_inst_pref_size 2
		.amdhsa_round_robin_scheduling 0
		.amdhsa_exception_fp_ieee_invalid_op 0
		.amdhsa_exception_fp_denorm_src 0
		.amdhsa_exception_fp_ieee_div_zero 0
		.amdhsa_exception_fp_ieee_overflow 0
		.amdhsa_exception_fp_ieee_underflow 0
		.amdhsa_exception_fp_ieee_inexact 0
		.amdhsa_exception_int_div_zero 0
	.end_amdhsa_kernel
	.section	.text._ZN9rocsparseL25kernel_set_identity_arrayILj1024EdlEEvT1_PT0_,"axG",@progbits,_ZN9rocsparseL25kernel_set_identity_arrayILj1024EdlEEvT1_PT0_,comdat
.Lfunc_end45:
	.size	_ZN9rocsparseL25kernel_set_identity_arrayILj1024EdlEEvT1_PT0_, .Lfunc_end45-_ZN9rocsparseL25kernel_set_identity_arrayILj1024EdlEEvT1_PT0_
                                        ; -- End function
	.set _ZN9rocsparseL25kernel_set_identity_arrayILj1024EdlEEvT1_PT0_.num_vgpr, 4
	.set _ZN9rocsparseL25kernel_set_identity_arrayILj1024EdlEEvT1_PT0_.num_agpr, 0
	.set _ZN9rocsparseL25kernel_set_identity_arrayILj1024EdlEEvT1_PT0_.numbered_sgpr, 8
	.set _ZN9rocsparseL25kernel_set_identity_arrayILj1024EdlEEvT1_PT0_.num_named_barrier, 0
	.set _ZN9rocsparseL25kernel_set_identity_arrayILj1024EdlEEvT1_PT0_.private_seg_size, 0
	.set _ZN9rocsparseL25kernel_set_identity_arrayILj1024EdlEEvT1_PT0_.uses_vcc, 0
	.set _ZN9rocsparseL25kernel_set_identity_arrayILj1024EdlEEvT1_PT0_.uses_flat_scratch, 0
	.set _ZN9rocsparseL25kernel_set_identity_arrayILj1024EdlEEvT1_PT0_.has_dyn_sized_stack, 0
	.set _ZN9rocsparseL25kernel_set_identity_arrayILj1024EdlEEvT1_PT0_.has_recursion, 0
	.set _ZN9rocsparseL25kernel_set_identity_arrayILj1024EdlEEvT1_PT0_.has_indirect_call, 0
	.section	.AMDGPU.csdata,"",@progbits
; Kernel info:
; codeLenInByte = 132
; TotalNumSgprs: 8
; NumVgprs: 4
; ScratchSize: 0
; MemoryBound: 0
; FloatMode: 240
; IeeeMode: 1
; LDSByteSize: 0 bytes/workgroup (compile time only)
; SGPRBlocks: 0
; VGPRBlocks: 0
; NumSGPRsForWavesPerEU: 8
; NumVGPRsForWavesPerEU: 4
; NamedBarCnt: 0
; Occupancy: 16
; WaveLimiterHint : 0
; COMPUTE_PGM_RSRC2:SCRATCH_EN: 0
; COMPUTE_PGM_RSRC2:USER_SGPR: 2
; COMPUTE_PGM_RSRC2:TRAP_HANDLER: 0
; COMPUTE_PGM_RSRC2:TGID_X_EN: 1
; COMPUTE_PGM_RSRC2:TGID_Y_EN: 0
; COMPUTE_PGM_RSRC2:TGID_Z_EN: 0
; COMPUTE_PGM_RSRC2:TIDIG_COMP_CNT: 0
	.section	.text._ZN9rocsparseL25kernel_get_permuted_arrayILj1024EdlEEvT1_PKT0_PS2_PKS1_,"axG",@progbits,_ZN9rocsparseL25kernel_get_permuted_arrayILj1024EdlEEvT1_PKT0_PS2_PKS1_,comdat
	.globl	_ZN9rocsparseL25kernel_get_permuted_arrayILj1024EdlEEvT1_PKT0_PS2_PKS1_ ; -- Begin function _ZN9rocsparseL25kernel_get_permuted_arrayILj1024EdlEEvT1_PKT0_PS2_PKS1_
	.p2align	8
	.type	_ZN9rocsparseL25kernel_get_permuted_arrayILj1024EdlEEvT1_PKT0_PS2_PKS1_,@function
_ZN9rocsparseL25kernel_get_permuted_arrayILj1024EdlEEvT1_PKT0_PS2_PKS1_: ; @_ZN9rocsparseL25kernel_get_permuted_arrayILj1024EdlEEvT1_PKT0_PS2_PKS1_
; %bb.0:
	s_load_b32 s2, s[0:1], 0x2c
	s_bfe_u32 s12, ttmp6, 0x4000c
	s_load_b256 s[4:11], s[0:1], 0x0
	s_add_co_i32 s12, s12, 1
	s_and_b32 s3, ttmp6, 15
	s_wait_xcnt 0x0
	s_mul_i32 s1, ttmp9, s12
	s_getreg_b32 s0, hwreg(HW_REG_IB_STS2, 6, 4)
	s_add_co_i32 s3, s3, s1
	v_mov_b32_e32 v1, 0
	s_wait_kmcnt 0x0
	s_and_b32 s2, s2, 0xffff
	s_cmp_eq_u32 s0, 0
	s_cselect_b32 s0, ttmp9, s3
	s_delay_alu instid0(SALU_CYCLE_1) | instskip(SKIP_1) | instid1(VALU_DEP_1)
	v_mad_u32 v0, s0, s2, v0
	s_mov_b32 s0, exec_lo
	v_cmpx_gt_i64_e64 s[4:5], v[0:1]
	s_cbranch_execz .LBB46_2
; %bb.1:
	v_lshlrev_b64_e32 v[0:1], 3, v[0:1]
	s_delay_alu instid0(VALU_DEP_1)
	v_add_nc_u64_e32 v[2:3], s[10:11], v[0:1]
	v_add_nc_u64_e32 v[0:1], s[8:9], v[0:1]
	global_load_b64 v[2:3], v[2:3], off
	s_wait_loadcnt 0x0
	v_lshl_add_u64 v[2:3], v[2:3], 3, s[6:7]
	global_load_b64 v[2:3], v[2:3], off
	s_wait_loadcnt 0x0
	global_store_b64 v[0:1], v[2:3], off
.LBB46_2:
	s_endpgm
	.section	.rodata,"a",@progbits
	.p2align	6, 0x0
	.amdhsa_kernel _ZN9rocsparseL25kernel_get_permuted_arrayILj1024EdlEEvT1_PKT0_PS2_PKS1_
		.amdhsa_group_segment_fixed_size 0
		.amdhsa_private_segment_fixed_size 0
		.amdhsa_kernarg_size 288
		.amdhsa_user_sgpr_count 2
		.amdhsa_user_sgpr_dispatch_ptr 0
		.amdhsa_user_sgpr_queue_ptr 0
		.amdhsa_user_sgpr_kernarg_segment_ptr 1
		.amdhsa_user_sgpr_dispatch_id 0
		.amdhsa_user_sgpr_kernarg_preload_length 0
		.amdhsa_user_sgpr_kernarg_preload_offset 0
		.amdhsa_user_sgpr_private_segment_size 0
		.amdhsa_wavefront_size32 1
		.amdhsa_uses_dynamic_stack 0
		.amdhsa_enable_private_segment 0
		.amdhsa_system_sgpr_workgroup_id_x 1
		.amdhsa_system_sgpr_workgroup_id_y 0
		.amdhsa_system_sgpr_workgroup_id_z 0
		.amdhsa_system_sgpr_workgroup_info 0
		.amdhsa_system_vgpr_workitem_id 0
		.amdhsa_next_free_vgpr 4
		.amdhsa_next_free_sgpr 13
		.amdhsa_named_barrier_count 0
		.amdhsa_reserve_vcc 0
		.amdhsa_float_round_mode_32 0
		.amdhsa_float_round_mode_16_64 0
		.amdhsa_float_denorm_mode_32 3
		.amdhsa_float_denorm_mode_16_64 3
		.amdhsa_fp16_overflow 0
		.amdhsa_memory_ordered 1
		.amdhsa_forward_progress 1
		.amdhsa_inst_pref_size 2
		.amdhsa_round_robin_scheduling 0
		.amdhsa_exception_fp_ieee_invalid_op 0
		.amdhsa_exception_fp_denorm_src 0
		.amdhsa_exception_fp_ieee_div_zero 0
		.amdhsa_exception_fp_ieee_overflow 0
		.amdhsa_exception_fp_ieee_underflow 0
		.amdhsa_exception_fp_ieee_inexact 0
		.amdhsa_exception_int_div_zero 0
	.end_amdhsa_kernel
	.section	.text._ZN9rocsparseL25kernel_get_permuted_arrayILj1024EdlEEvT1_PKT0_PS2_PKS1_,"axG",@progbits,_ZN9rocsparseL25kernel_get_permuted_arrayILj1024EdlEEvT1_PKT0_PS2_PKS1_,comdat
.Lfunc_end46:
	.size	_ZN9rocsparseL25kernel_get_permuted_arrayILj1024EdlEEvT1_PKT0_PS2_PKS1_, .Lfunc_end46-_ZN9rocsparseL25kernel_get_permuted_arrayILj1024EdlEEvT1_PKT0_PS2_PKS1_
                                        ; -- End function
	.set _ZN9rocsparseL25kernel_get_permuted_arrayILj1024EdlEEvT1_PKT0_PS2_PKS1_.num_vgpr, 4
	.set _ZN9rocsparseL25kernel_get_permuted_arrayILj1024EdlEEvT1_PKT0_PS2_PKS1_.num_agpr, 0
	.set _ZN9rocsparseL25kernel_get_permuted_arrayILj1024EdlEEvT1_PKT0_PS2_PKS1_.numbered_sgpr, 13
	.set _ZN9rocsparseL25kernel_get_permuted_arrayILj1024EdlEEvT1_PKT0_PS2_PKS1_.num_named_barrier, 0
	.set _ZN9rocsparseL25kernel_get_permuted_arrayILj1024EdlEEvT1_PKT0_PS2_PKS1_.private_seg_size, 0
	.set _ZN9rocsparseL25kernel_get_permuted_arrayILj1024EdlEEvT1_PKT0_PS2_PKS1_.uses_vcc, 0
	.set _ZN9rocsparseL25kernel_get_permuted_arrayILj1024EdlEEvT1_PKT0_PS2_PKS1_.uses_flat_scratch, 0
	.set _ZN9rocsparseL25kernel_get_permuted_arrayILj1024EdlEEvT1_PKT0_PS2_PKS1_.has_dyn_sized_stack, 0
	.set _ZN9rocsparseL25kernel_get_permuted_arrayILj1024EdlEEvT1_PKT0_PS2_PKS1_.has_recursion, 0
	.set _ZN9rocsparseL25kernel_get_permuted_arrayILj1024EdlEEvT1_PKT0_PS2_PKS1_.has_indirect_call, 0
	.section	.AMDGPU.csdata,"",@progbits
; Kernel info:
; codeLenInByte = 172
; TotalNumSgprs: 13
; NumVgprs: 4
; ScratchSize: 0
; MemoryBound: 0
; FloatMode: 240
; IeeeMode: 1
; LDSByteSize: 0 bytes/workgroup (compile time only)
; SGPRBlocks: 0
; VGPRBlocks: 0
; NumSGPRsForWavesPerEU: 13
; NumVGPRsForWavesPerEU: 4
; NamedBarCnt: 0
; Occupancy: 16
; WaveLimiterHint : 1
; COMPUTE_PGM_RSRC2:SCRATCH_EN: 0
; COMPUTE_PGM_RSRC2:USER_SGPR: 2
; COMPUTE_PGM_RSRC2:TRAP_HANDLER: 0
; COMPUTE_PGM_RSRC2:TGID_X_EN: 1
; COMPUTE_PGM_RSRC2:TGID_Y_EN: 0
; COMPUTE_PGM_RSRC2:TGID_Z_EN: 0
; COMPUTE_PGM_RSRC2:TIDIG_COMP_CNT: 0
	.section	.text._ZN9rocsparseL25kernel_set_permuted_arrayILj1024EdlEEvT1_PT0_PKS2_PKS1_,"axG",@progbits,_ZN9rocsparseL25kernel_set_permuted_arrayILj1024EdlEEvT1_PT0_PKS2_PKS1_,comdat
	.globl	_ZN9rocsparseL25kernel_set_permuted_arrayILj1024EdlEEvT1_PT0_PKS2_PKS1_ ; -- Begin function _ZN9rocsparseL25kernel_set_permuted_arrayILj1024EdlEEvT1_PT0_PKS2_PKS1_
	.p2align	8
	.type	_ZN9rocsparseL25kernel_set_permuted_arrayILj1024EdlEEvT1_PT0_PKS2_PKS1_,@function
_ZN9rocsparseL25kernel_set_permuted_arrayILj1024EdlEEvT1_PT0_PKS2_PKS1_: ; @_ZN9rocsparseL25kernel_set_permuted_arrayILj1024EdlEEvT1_PT0_PKS2_PKS1_
; %bb.0:
	s_load_b32 s2, s[0:1], 0x2c
	s_bfe_u32 s12, ttmp6, 0x4000c
	s_load_b256 s[4:11], s[0:1], 0x0
	s_add_co_i32 s12, s12, 1
	s_and_b32 s3, ttmp6, 15
	s_wait_xcnt 0x0
	s_mul_i32 s1, ttmp9, s12
	s_getreg_b32 s0, hwreg(HW_REG_IB_STS2, 6, 4)
	s_add_co_i32 s3, s3, s1
	v_mov_b32_e32 v1, 0
	s_wait_kmcnt 0x0
	s_and_b32 s2, s2, 0xffff
	s_cmp_eq_u32 s0, 0
	s_cselect_b32 s0, ttmp9, s3
	s_delay_alu instid0(SALU_CYCLE_1) | instskip(SKIP_1) | instid1(VALU_DEP_1)
	v_mad_u32 v0, s0, s2, v0
	s_mov_b32 s0, exec_lo
	v_cmpx_gt_i64_e64 s[4:5], v[0:1]
	s_cbranch_execz .LBB47_2
; %bb.1:
	v_lshlrev_b64_e32 v[0:1], 3, v[0:1]
	s_delay_alu instid0(VALU_DEP_1)
	v_add_nc_u64_e32 v[2:3], s[10:11], v[0:1]
	v_add_nc_u64_e32 v[0:1], s[8:9], v[0:1]
	global_load_b64 v[4:5], v[2:3], off
	global_load_b64 v[6:7], v[0:1], off
	s_wait_loadcnt 0x1
	s_wait_xcnt 0x0
	v_lshl_add_u64 v[0:1], v[4:5], 3, s[6:7]
	s_wait_loadcnt 0x0
	global_store_b64 v[0:1], v[6:7], off
.LBB47_2:
	s_endpgm
	.section	.rodata,"a",@progbits
	.p2align	6, 0x0
	.amdhsa_kernel _ZN9rocsparseL25kernel_set_permuted_arrayILj1024EdlEEvT1_PT0_PKS2_PKS1_
		.amdhsa_group_segment_fixed_size 0
		.amdhsa_private_segment_fixed_size 0
		.amdhsa_kernarg_size 288
		.amdhsa_user_sgpr_count 2
		.amdhsa_user_sgpr_dispatch_ptr 0
		.amdhsa_user_sgpr_queue_ptr 0
		.amdhsa_user_sgpr_kernarg_segment_ptr 1
		.amdhsa_user_sgpr_dispatch_id 0
		.amdhsa_user_sgpr_kernarg_preload_length 0
		.amdhsa_user_sgpr_kernarg_preload_offset 0
		.amdhsa_user_sgpr_private_segment_size 0
		.amdhsa_wavefront_size32 1
		.amdhsa_uses_dynamic_stack 0
		.amdhsa_enable_private_segment 0
		.amdhsa_system_sgpr_workgroup_id_x 1
		.amdhsa_system_sgpr_workgroup_id_y 0
		.amdhsa_system_sgpr_workgroup_id_z 0
		.amdhsa_system_sgpr_workgroup_info 0
		.amdhsa_system_vgpr_workitem_id 0
		.amdhsa_next_free_vgpr 8
		.amdhsa_next_free_sgpr 13
		.amdhsa_named_barrier_count 0
		.amdhsa_reserve_vcc 0
		.amdhsa_float_round_mode_32 0
		.amdhsa_float_round_mode_16_64 0
		.amdhsa_float_denorm_mode_32 3
		.amdhsa_float_denorm_mode_16_64 3
		.amdhsa_fp16_overflow 0
		.amdhsa_memory_ordered 1
		.amdhsa_forward_progress 1
		.amdhsa_inst_pref_size 2
		.amdhsa_round_robin_scheduling 0
		.amdhsa_exception_fp_ieee_invalid_op 0
		.amdhsa_exception_fp_denorm_src 0
		.amdhsa_exception_fp_ieee_div_zero 0
		.amdhsa_exception_fp_ieee_overflow 0
		.amdhsa_exception_fp_ieee_underflow 0
		.amdhsa_exception_fp_ieee_inexact 0
		.amdhsa_exception_int_div_zero 0
	.end_amdhsa_kernel
	.section	.text._ZN9rocsparseL25kernel_set_permuted_arrayILj1024EdlEEvT1_PT0_PKS2_PKS1_,"axG",@progbits,_ZN9rocsparseL25kernel_set_permuted_arrayILj1024EdlEEvT1_PT0_PKS2_PKS1_,comdat
.Lfunc_end47:
	.size	_ZN9rocsparseL25kernel_set_permuted_arrayILj1024EdlEEvT1_PT0_PKS2_PKS1_, .Lfunc_end47-_ZN9rocsparseL25kernel_set_permuted_arrayILj1024EdlEEvT1_PT0_PKS2_PKS1_
                                        ; -- End function
	.set _ZN9rocsparseL25kernel_set_permuted_arrayILj1024EdlEEvT1_PT0_PKS2_PKS1_.num_vgpr, 8
	.set _ZN9rocsparseL25kernel_set_permuted_arrayILj1024EdlEEvT1_PT0_PKS2_PKS1_.num_agpr, 0
	.set _ZN9rocsparseL25kernel_set_permuted_arrayILj1024EdlEEvT1_PT0_PKS2_PKS1_.numbered_sgpr, 13
	.set _ZN9rocsparseL25kernel_set_permuted_arrayILj1024EdlEEvT1_PT0_PKS2_PKS1_.num_named_barrier, 0
	.set _ZN9rocsparseL25kernel_set_permuted_arrayILj1024EdlEEvT1_PT0_PKS2_PKS1_.private_seg_size, 0
	.set _ZN9rocsparseL25kernel_set_permuted_arrayILj1024EdlEEvT1_PT0_PKS2_PKS1_.uses_vcc, 0
	.set _ZN9rocsparseL25kernel_set_permuted_arrayILj1024EdlEEvT1_PT0_PKS2_PKS1_.uses_flat_scratch, 0
	.set _ZN9rocsparseL25kernel_set_permuted_arrayILj1024EdlEEvT1_PT0_PKS2_PKS1_.has_dyn_sized_stack, 0
	.set _ZN9rocsparseL25kernel_set_permuted_arrayILj1024EdlEEvT1_PT0_PKS2_PKS1_.has_recursion, 0
	.set _ZN9rocsparseL25kernel_set_permuted_arrayILj1024EdlEEvT1_PT0_PKS2_PKS1_.has_indirect_call, 0
	.section	.AMDGPU.csdata,"",@progbits
; Kernel info:
; codeLenInByte = 176
; TotalNumSgprs: 13
; NumVgprs: 8
; ScratchSize: 0
; MemoryBound: 0
; FloatMode: 240
; IeeeMode: 1
; LDSByteSize: 0 bytes/workgroup (compile time only)
; SGPRBlocks: 0
; VGPRBlocks: 0
; NumSGPRsForWavesPerEU: 13
; NumVGPRsForWavesPerEU: 8
; NamedBarCnt: 0
; Occupancy: 16
; WaveLimiterHint : 1
; COMPUTE_PGM_RSRC2:SCRATCH_EN: 0
; COMPUTE_PGM_RSRC2:USER_SGPR: 2
; COMPUTE_PGM_RSRC2:TRAP_HANDLER: 0
; COMPUTE_PGM_RSRC2:TGID_X_EN: 1
; COMPUTE_PGM_RSRC2:TGID_Y_EN: 0
; COMPUTE_PGM_RSRC2:TGID_Z_EN: 0
; COMPUTE_PGM_RSRC2:TIDIG_COMP_CNT: 0
	.section	.text._ZN9rocsparseL25kernel_set_identity_arrayILj1024E21rocsparse_complex_numIfElEEvT1_PT0_,"axG",@progbits,_ZN9rocsparseL25kernel_set_identity_arrayILj1024E21rocsparse_complex_numIfElEEvT1_PT0_,comdat
	.globl	_ZN9rocsparseL25kernel_set_identity_arrayILj1024E21rocsparse_complex_numIfElEEvT1_PT0_ ; -- Begin function _ZN9rocsparseL25kernel_set_identity_arrayILj1024E21rocsparse_complex_numIfElEEvT1_PT0_
	.p2align	8
	.type	_ZN9rocsparseL25kernel_set_identity_arrayILj1024E21rocsparse_complex_numIfElEEvT1_PT0_,@function
_ZN9rocsparseL25kernel_set_identity_arrayILj1024E21rocsparse_complex_numIfElEEvT1_PT0_: ; @_ZN9rocsparseL25kernel_set_identity_arrayILj1024E21rocsparse_complex_numIfElEEvT1_PT0_
; %bb.0:
	s_clause 0x1
	s_load_b32 s2, s[0:1], 0x1c
	s_load_b128 s[4:7], s[0:1], 0x0
	s_wait_xcnt 0x0
	s_bfe_u32 s0, ttmp6, 0x4000c
	s_and_b32 s1, ttmp6, 15
	s_add_co_i32 s0, s0, 1
	s_getreg_b32 s3, hwreg(HW_REG_IB_STS2, 6, 4)
	s_mul_i32 s0, ttmp9, s0
	v_mov_b32_e32 v1, 0
	s_add_co_i32 s1, s1, s0
	s_wait_kmcnt 0x0
	s_and_b32 s2, s2, 0xffff
	s_cmp_eq_u32 s3, 0
	s_cselect_b32 s0, ttmp9, s1
	s_delay_alu instid0(SALU_CYCLE_1) | instskip(SKIP_1) | instid1(VALU_DEP_1)
	v_mad_u32 v0, s0, s2, v0
	s_mov_b32 s0, exec_lo
	v_cmpx_gt_i64_e64 s[4:5], v[0:1]
	s_cbranch_execz .LBB48_2
; %bb.1:
	v_mov_b64_e32 v[2:3], 0x3f800000
	v_lshl_add_u64 v[0:1], v[0:1], 3, s[6:7]
	global_store_b64 v[0:1], v[2:3], off
.LBB48_2:
	s_endpgm
	.section	.rodata,"a",@progbits
	.p2align	6, 0x0
	.amdhsa_kernel _ZN9rocsparseL25kernel_set_identity_arrayILj1024E21rocsparse_complex_numIfElEEvT1_PT0_
		.amdhsa_group_segment_fixed_size 0
		.amdhsa_private_segment_fixed_size 0
		.amdhsa_kernarg_size 272
		.amdhsa_user_sgpr_count 2
		.amdhsa_user_sgpr_dispatch_ptr 0
		.amdhsa_user_sgpr_queue_ptr 0
		.amdhsa_user_sgpr_kernarg_segment_ptr 1
		.amdhsa_user_sgpr_dispatch_id 0
		.amdhsa_user_sgpr_kernarg_preload_length 0
		.amdhsa_user_sgpr_kernarg_preload_offset 0
		.amdhsa_user_sgpr_private_segment_size 0
		.amdhsa_wavefront_size32 1
		.amdhsa_uses_dynamic_stack 0
		.amdhsa_enable_private_segment 0
		.amdhsa_system_sgpr_workgroup_id_x 1
		.amdhsa_system_sgpr_workgroup_id_y 0
		.amdhsa_system_sgpr_workgroup_id_z 0
		.amdhsa_system_sgpr_workgroup_info 0
		.amdhsa_system_vgpr_workitem_id 0
		.amdhsa_next_free_vgpr 4
		.amdhsa_next_free_sgpr 8
		.amdhsa_named_barrier_count 0
		.amdhsa_reserve_vcc 0
		.amdhsa_float_round_mode_32 0
		.amdhsa_float_round_mode_16_64 0
		.amdhsa_float_denorm_mode_32 3
		.amdhsa_float_denorm_mode_16_64 3
		.amdhsa_fp16_overflow 0
		.amdhsa_memory_ordered 1
		.amdhsa_forward_progress 1
		.amdhsa_inst_pref_size 2
		.amdhsa_round_robin_scheduling 0
		.amdhsa_exception_fp_ieee_invalid_op 0
		.amdhsa_exception_fp_denorm_src 0
		.amdhsa_exception_fp_ieee_div_zero 0
		.amdhsa_exception_fp_ieee_overflow 0
		.amdhsa_exception_fp_ieee_underflow 0
		.amdhsa_exception_fp_ieee_inexact 0
		.amdhsa_exception_int_div_zero 0
	.end_amdhsa_kernel
	.section	.text._ZN9rocsparseL25kernel_set_identity_arrayILj1024E21rocsparse_complex_numIfElEEvT1_PT0_,"axG",@progbits,_ZN9rocsparseL25kernel_set_identity_arrayILj1024E21rocsparse_complex_numIfElEEvT1_PT0_,comdat
.Lfunc_end48:
	.size	_ZN9rocsparseL25kernel_set_identity_arrayILj1024E21rocsparse_complex_numIfElEEvT1_PT0_, .Lfunc_end48-_ZN9rocsparseL25kernel_set_identity_arrayILj1024E21rocsparse_complex_numIfElEEvT1_PT0_
                                        ; -- End function
	.set _ZN9rocsparseL25kernel_set_identity_arrayILj1024E21rocsparse_complex_numIfElEEvT1_PT0_.num_vgpr, 4
	.set _ZN9rocsparseL25kernel_set_identity_arrayILj1024E21rocsparse_complex_numIfElEEvT1_PT0_.num_agpr, 0
	.set _ZN9rocsparseL25kernel_set_identity_arrayILj1024E21rocsparse_complex_numIfElEEvT1_PT0_.numbered_sgpr, 8
	.set _ZN9rocsparseL25kernel_set_identity_arrayILj1024E21rocsparse_complex_numIfElEEvT1_PT0_.num_named_barrier, 0
	.set _ZN9rocsparseL25kernel_set_identity_arrayILj1024E21rocsparse_complex_numIfElEEvT1_PT0_.private_seg_size, 0
	.set _ZN9rocsparseL25kernel_set_identity_arrayILj1024E21rocsparse_complex_numIfElEEvT1_PT0_.uses_vcc, 0
	.set _ZN9rocsparseL25kernel_set_identity_arrayILj1024E21rocsparse_complex_numIfElEEvT1_PT0_.uses_flat_scratch, 0
	.set _ZN9rocsparseL25kernel_set_identity_arrayILj1024E21rocsparse_complex_numIfElEEvT1_PT0_.has_dyn_sized_stack, 0
	.set _ZN9rocsparseL25kernel_set_identity_arrayILj1024E21rocsparse_complex_numIfElEEvT1_PT0_.has_recursion, 0
	.set _ZN9rocsparseL25kernel_set_identity_arrayILj1024E21rocsparse_complex_numIfElEEvT1_PT0_.has_indirect_call, 0
	.section	.AMDGPU.csdata,"",@progbits
; Kernel info:
; codeLenInByte = 136
; TotalNumSgprs: 8
; NumVgprs: 4
; ScratchSize: 0
; MemoryBound: 0
; FloatMode: 240
; IeeeMode: 1
; LDSByteSize: 0 bytes/workgroup (compile time only)
; SGPRBlocks: 0
; VGPRBlocks: 0
; NumSGPRsForWavesPerEU: 8
; NumVGPRsForWavesPerEU: 4
; NamedBarCnt: 0
; Occupancy: 16
; WaveLimiterHint : 0
; COMPUTE_PGM_RSRC2:SCRATCH_EN: 0
; COMPUTE_PGM_RSRC2:USER_SGPR: 2
; COMPUTE_PGM_RSRC2:TRAP_HANDLER: 0
; COMPUTE_PGM_RSRC2:TGID_X_EN: 1
; COMPUTE_PGM_RSRC2:TGID_Y_EN: 0
; COMPUTE_PGM_RSRC2:TGID_Z_EN: 0
; COMPUTE_PGM_RSRC2:TIDIG_COMP_CNT: 0
	.section	.text._ZN9rocsparseL25kernel_get_permuted_arrayILj1024E21rocsparse_complex_numIfElEEvT1_PKT0_PS4_PKS3_,"axG",@progbits,_ZN9rocsparseL25kernel_get_permuted_arrayILj1024E21rocsparse_complex_numIfElEEvT1_PKT0_PS4_PKS3_,comdat
	.globl	_ZN9rocsparseL25kernel_get_permuted_arrayILj1024E21rocsparse_complex_numIfElEEvT1_PKT0_PS4_PKS3_ ; -- Begin function _ZN9rocsparseL25kernel_get_permuted_arrayILj1024E21rocsparse_complex_numIfElEEvT1_PKT0_PS4_PKS3_
	.p2align	8
	.type	_ZN9rocsparseL25kernel_get_permuted_arrayILj1024E21rocsparse_complex_numIfElEEvT1_PKT0_PS4_PKS3_,@function
_ZN9rocsparseL25kernel_get_permuted_arrayILj1024E21rocsparse_complex_numIfElEEvT1_PKT0_PS4_PKS3_: ; @_ZN9rocsparseL25kernel_get_permuted_arrayILj1024E21rocsparse_complex_numIfElEEvT1_PKT0_PS4_PKS3_
; %bb.0:
	s_load_b32 s2, s[0:1], 0x2c
	s_bfe_u32 s12, ttmp6, 0x4000c
	s_load_b256 s[4:11], s[0:1], 0x0
	s_add_co_i32 s12, s12, 1
	s_and_b32 s3, ttmp6, 15
	s_wait_xcnt 0x0
	s_mul_i32 s1, ttmp9, s12
	s_getreg_b32 s0, hwreg(HW_REG_IB_STS2, 6, 4)
	s_add_co_i32 s3, s3, s1
	v_mov_b32_e32 v1, 0
	s_wait_kmcnt 0x0
	s_and_b32 s2, s2, 0xffff
	s_cmp_eq_u32 s0, 0
	s_cselect_b32 s0, ttmp9, s3
	s_delay_alu instid0(SALU_CYCLE_1) | instskip(SKIP_1) | instid1(VALU_DEP_1)
	v_mad_u32 v0, s0, s2, v0
	s_mov_b32 s0, exec_lo
	v_cmpx_gt_i64_e64 s[4:5], v[0:1]
	s_cbranch_execz .LBB49_2
; %bb.1:
	v_lshlrev_b64_e32 v[0:1], 3, v[0:1]
	s_delay_alu instid0(VALU_DEP_1)
	v_add_nc_u64_e32 v[2:3], s[10:11], v[0:1]
	v_add_nc_u64_e32 v[0:1], s[8:9], v[0:1]
	global_load_b64 v[2:3], v[2:3], off
	s_wait_loadcnt 0x0
	v_lshl_add_u64 v[2:3], v[2:3], 3, s[6:7]
	global_load_b64 v[2:3], v[2:3], off
	s_wait_loadcnt 0x0
	global_store_b64 v[0:1], v[2:3], off
.LBB49_2:
	s_endpgm
	.section	.rodata,"a",@progbits
	.p2align	6, 0x0
	.amdhsa_kernel _ZN9rocsparseL25kernel_get_permuted_arrayILj1024E21rocsparse_complex_numIfElEEvT1_PKT0_PS4_PKS3_
		.amdhsa_group_segment_fixed_size 0
		.amdhsa_private_segment_fixed_size 0
		.amdhsa_kernarg_size 288
		.amdhsa_user_sgpr_count 2
		.amdhsa_user_sgpr_dispatch_ptr 0
		.amdhsa_user_sgpr_queue_ptr 0
		.amdhsa_user_sgpr_kernarg_segment_ptr 1
		.amdhsa_user_sgpr_dispatch_id 0
		.amdhsa_user_sgpr_kernarg_preload_length 0
		.amdhsa_user_sgpr_kernarg_preload_offset 0
		.amdhsa_user_sgpr_private_segment_size 0
		.amdhsa_wavefront_size32 1
		.amdhsa_uses_dynamic_stack 0
		.amdhsa_enable_private_segment 0
		.amdhsa_system_sgpr_workgroup_id_x 1
		.amdhsa_system_sgpr_workgroup_id_y 0
		.amdhsa_system_sgpr_workgroup_id_z 0
		.amdhsa_system_sgpr_workgroup_info 0
		.amdhsa_system_vgpr_workitem_id 0
		.amdhsa_next_free_vgpr 4
		.amdhsa_next_free_sgpr 13
		.amdhsa_named_barrier_count 0
		.amdhsa_reserve_vcc 0
		.amdhsa_float_round_mode_32 0
		.amdhsa_float_round_mode_16_64 0
		.amdhsa_float_denorm_mode_32 3
		.amdhsa_float_denorm_mode_16_64 3
		.amdhsa_fp16_overflow 0
		.amdhsa_memory_ordered 1
		.amdhsa_forward_progress 1
		.amdhsa_inst_pref_size 2
		.amdhsa_round_robin_scheduling 0
		.amdhsa_exception_fp_ieee_invalid_op 0
		.amdhsa_exception_fp_denorm_src 0
		.amdhsa_exception_fp_ieee_div_zero 0
		.amdhsa_exception_fp_ieee_overflow 0
		.amdhsa_exception_fp_ieee_underflow 0
		.amdhsa_exception_fp_ieee_inexact 0
		.amdhsa_exception_int_div_zero 0
	.end_amdhsa_kernel
	.section	.text._ZN9rocsparseL25kernel_get_permuted_arrayILj1024E21rocsparse_complex_numIfElEEvT1_PKT0_PS4_PKS3_,"axG",@progbits,_ZN9rocsparseL25kernel_get_permuted_arrayILj1024E21rocsparse_complex_numIfElEEvT1_PKT0_PS4_PKS3_,comdat
.Lfunc_end49:
	.size	_ZN9rocsparseL25kernel_get_permuted_arrayILj1024E21rocsparse_complex_numIfElEEvT1_PKT0_PS4_PKS3_, .Lfunc_end49-_ZN9rocsparseL25kernel_get_permuted_arrayILj1024E21rocsparse_complex_numIfElEEvT1_PKT0_PS4_PKS3_
                                        ; -- End function
	.set _ZN9rocsparseL25kernel_get_permuted_arrayILj1024E21rocsparse_complex_numIfElEEvT1_PKT0_PS4_PKS3_.num_vgpr, 4
	.set _ZN9rocsparseL25kernel_get_permuted_arrayILj1024E21rocsparse_complex_numIfElEEvT1_PKT0_PS4_PKS3_.num_agpr, 0
	.set _ZN9rocsparseL25kernel_get_permuted_arrayILj1024E21rocsparse_complex_numIfElEEvT1_PKT0_PS4_PKS3_.numbered_sgpr, 13
	.set _ZN9rocsparseL25kernel_get_permuted_arrayILj1024E21rocsparse_complex_numIfElEEvT1_PKT0_PS4_PKS3_.num_named_barrier, 0
	.set _ZN9rocsparseL25kernel_get_permuted_arrayILj1024E21rocsparse_complex_numIfElEEvT1_PKT0_PS4_PKS3_.private_seg_size, 0
	.set _ZN9rocsparseL25kernel_get_permuted_arrayILj1024E21rocsparse_complex_numIfElEEvT1_PKT0_PS4_PKS3_.uses_vcc, 0
	.set _ZN9rocsparseL25kernel_get_permuted_arrayILj1024E21rocsparse_complex_numIfElEEvT1_PKT0_PS4_PKS3_.uses_flat_scratch, 0
	.set _ZN9rocsparseL25kernel_get_permuted_arrayILj1024E21rocsparse_complex_numIfElEEvT1_PKT0_PS4_PKS3_.has_dyn_sized_stack, 0
	.set _ZN9rocsparseL25kernel_get_permuted_arrayILj1024E21rocsparse_complex_numIfElEEvT1_PKT0_PS4_PKS3_.has_recursion, 0
	.set _ZN9rocsparseL25kernel_get_permuted_arrayILj1024E21rocsparse_complex_numIfElEEvT1_PKT0_PS4_PKS3_.has_indirect_call, 0
	.section	.AMDGPU.csdata,"",@progbits
; Kernel info:
; codeLenInByte = 172
; TotalNumSgprs: 13
; NumVgprs: 4
; ScratchSize: 0
; MemoryBound: 0
; FloatMode: 240
; IeeeMode: 1
; LDSByteSize: 0 bytes/workgroup (compile time only)
; SGPRBlocks: 0
; VGPRBlocks: 0
; NumSGPRsForWavesPerEU: 13
; NumVGPRsForWavesPerEU: 4
; NamedBarCnt: 0
; Occupancy: 16
; WaveLimiterHint : 1
; COMPUTE_PGM_RSRC2:SCRATCH_EN: 0
; COMPUTE_PGM_RSRC2:USER_SGPR: 2
; COMPUTE_PGM_RSRC2:TRAP_HANDLER: 0
; COMPUTE_PGM_RSRC2:TGID_X_EN: 1
; COMPUTE_PGM_RSRC2:TGID_Y_EN: 0
; COMPUTE_PGM_RSRC2:TGID_Z_EN: 0
; COMPUTE_PGM_RSRC2:TIDIG_COMP_CNT: 0
	.section	.text._ZN9rocsparseL25kernel_set_permuted_arrayILj1024E21rocsparse_complex_numIfElEEvT1_PT0_PKS4_PKS3_,"axG",@progbits,_ZN9rocsparseL25kernel_set_permuted_arrayILj1024E21rocsparse_complex_numIfElEEvT1_PT0_PKS4_PKS3_,comdat
	.globl	_ZN9rocsparseL25kernel_set_permuted_arrayILj1024E21rocsparse_complex_numIfElEEvT1_PT0_PKS4_PKS3_ ; -- Begin function _ZN9rocsparseL25kernel_set_permuted_arrayILj1024E21rocsparse_complex_numIfElEEvT1_PT0_PKS4_PKS3_
	.p2align	8
	.type	_ZN9rocsparseL25kernel_set_permuted_arrayILj1024E21rocsparse_complex_numIfElEEvT1_PT0_PKS4_PKS3_,@function
_ZN9rocsparseL25kernel_set_permuted_arrayILj1024E21rocsparse_complex_numIfElEEvT1_PT0_PKS4_PKS3_: ; @_ZN9rocsparseL25kernel_set_permuted_arrayILj1024E21rocsparse_complex_numIfElEEvT1_PT0_PKS4_PKS3_
; %bb.0:
	s_load_b32 s2, s[0:1], 0x2c
	s_bfe_u32 s12, ttmp6, 0x4000c
	s_load_b256 s[4:11], s[0:1], 0x0
	s_add_co_i32 s12, s12, 1
	s_and_b32 s3, ttmp6, 15
	s_wait_xcnt 0x0
	s_mul_i32 s1, ttmp9, s12
	s_getreg_b32 s0, hwreg(HW_REG_IB_STS2, 6, 4)
	s_add_co_i32 s3, s3, s1
	v_mov_b32_e32 v1, 0
	s_wait_kmcnt 0x0
	s_and_b32 s2, s2, 0xffff
	s_cmp_eq_u32 s0, 0
	s_cselect_b32 s0, ttmp9, s3
	s_delay_alu instid0(SALU_CYCLE_1) | instskip(SKIP_1) | instid1(VALU_DEP_1)
	v_mad_u32 v0, s0, s2, v0
	s_mov_b32 s0, exec_lo
	v_cmpx_gt_i64_e64 s[4:5], v[0:1]
	s_cbranch_execz .LBB50_2
; %bb.1:
	v_lshlrev_b64_e32 v[0:1], 3, v[0:1]
	s_delay_alu instid0(VALU_DEP_1)
	v_add_nc_u64_e32 v[2:3], s[10:11], v[0:1]
	v_add_nc_u64_e32 v[0:1], s[8:9], v[0:1]
	global_load_b64 v[4:5], v[2:3], off
	global_load_b64 v[6:7], v[0:1], off
	s_wait_loadcnt 0x1
	s_wait_xcnt 0x0
	v_lshl_add_u64 v[0:1], v[4:5], 3, s[6:7]
	s_wait_loadcnt 0x0
	global_store_b64 v[0:1], v[6:7], off
.LBB50_2:
	s_endpgm
	.section	.rodata,"a",@progbits
	.p2align	6, 0x0
	.amdhsa_kernel _ZN9rocsparseL25kernel_set_permuted_arrayILj1024E21rocsparse_complex_numIfElEEvT1_PT0_PKS4_PKS3_
		.amdhsa_group_segment_fixed_size 0
		.amdhsa_private_segment_fixed_size 0
		.amdhsa_kernarg_size 288
		.amdhsa_user_sgpr_count 2
		.amdhsa_user_sgpr_dispatch_ptr 0
		.amdhsa_user_sgpr_queue_ptr 0
		.amdhsa_user_sgpr_kernarg_segment_ptr 1
		.amdhsa_user_sgpr_dispatch_id 0
		.amdhsa_user_sgpr_kernarg_preload_length 0
		.amdhsa_user_sgpr_kernarg_preload_offset 0
		.amdhsa_user_sgpr_private_segment_size 0
		.amdhsa_wavefront_size32 1
		.amdhsa_uses_dynamic_stack 0
		.amdhsa_enable_private_segment 0
		.amdhsa_system_sgpr_workgroup_id_x 1
		.amdhsa_system_sgpr_workgroup_id_y 0
		.amdhsa_system_sgpr_workgroup_id_z 0
		.amdhsa_system_sgpr_workgroup_info 0
		.amdhsa_system_vgpr_workitem_id 0
		.amdhsa_next_free_vgpr 8
		.amdhsa_next_free_sgpr 13
		.amdhsa_named_barrier_count 0
		.amdhsa_reserve_vcc 0
		.amdhsa_float_round_mode_32 0
		.amdhsa_float_round_mode_16_64 0
		.amdhsa_float_denorm_mode_32 3
		.amdhsa_float_denorm_mode_16_64 3
		.amdhsa_fp16_overflow 0
		.amdhsa_memory_ordered 1
		.amdhsa_forward_progress 1
		.amdhsa_inst_pref_size 2
		.amdhsa_round_robin_scheduling 0
		.amdhsa_exception_fp_ieee_invalid_op 0
		.amdhsa_exception_fp_denorm_src 0
		.amdhsa_exception_fp_ieee_div_zero 0
		.amdhsa_exception_fp_ieee_overflow 0
		.amdhsa_exception_fp_ieee_underflow 0
		.amdhsa_exception_fp_ieee_inexact 0
		.amdhsa_exception_int_div_zero 0
	.end_amdhsa_kernel
	.section	.text._ZN9rocsparseL25kernel_set_permuted_arrayILj1024E21rocsparse_complex_numIfElEEvT1_PT0_PKS4_PKS3_,"axG",@progbits,_ZN9rocsparseL25kernel_set_permuted_arrayILj1024E21rocsparse_complex_numIfElEEvT1_PT0_PKS4_PKS3_,comdat
.Lfunc_end50:
	.size	_ZN9rocsparseL25kernel_set_permuted_arrayILj1024E21rocsparse_complex_numIfElEEvT1_PT0_PKS4_PKS3_, .Lfunc_end50-_ZN9rocsparseL25kernel_set_permuted_arrayILj1024E21rocsparse_complex_numIfElEEvT1_PT0_PKS4_PKS3_
                                        ; -- End function
	.set _ZN9rocsparseL25kernel_set_permuted_arrayILj1024E21rocsparse_complex_numIfElEEvT1_PT0_PKS4_PKS3_.num_vgpr, 8
	.set _ZN9rocsparseL25kernel_set_permuted_arrayILj1024E21rocsparse_complex_numIfElEEvT1_PT0_PKS4_PKS3_.num_agpr, 0
	.set _ZN9rocsparseL25kernel_set_permuted_arrayILj1024E21rocsparse_complex_numIfElEEvT1_PT0_PKS4_PKS3_.numbered_sgpr, 13
	.set _ZN9rocsparseL25kernel_set_permuted_arrayILj1024E21rocsparse_complex_numIfElEEvT1_PT0_PKS4_PKS3_.num_named_barrier, 0
	.set _ZN9rocsparseL25kernel_set_permuted_arrayILj1024E21rocsparse_complex_numIfElEEvT1_PT0_PKS4_PKS3_.private_seg_size, 0
	.set _ZN9rocsparseL25kernel_set_permuted_arrayILj1024E21rocsparse_complex_numIfElEEvT1_PT0_PKS4_PKS3_.uses_vcc, 0
	.set _ZN9rocsparseL25kernel_set_permuted_arrayILj1024E21rocsparse_complex_numIfElEEvT1_PT0_PKS4_PKS3_.uses_flat_scratch, 0
	.set _ZN9rocsparseL25kernel_set_permuted_arrayILj1024E21rocsparse_complex_numIfElEEvT1_PT0_PKS4_PKS3_.has_dyn_sized_stack, 0
	.set _ZN9rocsparseL25kernel_set_permuted_arrayILj1024E21rocsparse_complex_numIfElEEvT1_PT0_PKS4_PKS3_.has_recursion, 0
	.set _ZN9rocsparseL25kernel_set_permuted_arrayILj1024E21rocsparse_complex_numIfElEEvT1_PT0_PKS4_PKS3_.has_indirect_call, 0
	.section	.AMDGPU.csdata,"",@progbits
; Kernel info:
; codeLenInByte = 176
; TotalNumSgprs: 13
; NumVgprs: 8
; ScratchSize: 0
; MemoryBound: 0
; FloatMode: 240
; IeeeMode: 1
; LDSByteSize: 0 bytes/workgroup (compile time only)
; SGPRBlocks: 0
; VGPRBlocks: 0
; NumSGPRsForWavesPerEU: 13
; NumVGPRsForWavesPerEU: 8
; NamedBarCnt: 0
; Occupancy: 16
; WaveLimiterHint : 1
; COMPUTE_PGM_RSRC2:SCRATCH_EN: 0
; COMPUTE_PGM_RSRC2:USER_SGPR: 2
; COMPUTE_PGM_RSRC2:TRAP_HANDLER: 0
; COMPUTE_PGM_RSRC2:TGID_X_EN: 1
; COMPUTE_PGM_RSRC2:TGID_Y_EN: 0
; COMPUTE_PGM_RSRC2:TGID_Z_EN: 0
; COMPUTE_PGM_RSRC2:TIDIG_COMP_CNT: 0
	.section	.text._ZN9rocsparseL25kernel_set_identity_arrayILj1024E21rocsparse_complex_numIdElEEvT1_PT0_,"axG",@progbits,_ZN9rocsparseL25kernel_set_identity_arrayILj1024E21rocsparse_complex_numIdElEEvT1_PT0_,comdat
	.globl	_ZN9rocsparseL25kernel_set_identity_arrayILj1024E21rocsparse_complex_numIdElEEvT1_PT0_ ; -- Begin function _ZN9rocsparseL25kernel_set_identity_arrayILj1024E21rocsparse_complex_numIdElEEvT1_PT0_
	.p2align	8
	.type	_ZN9rocsparseL25kernel_set_identity_arrayILj1024E21rocsparse_complex_numIdElEEvT1_PT0_,@function
_ZN9rocsparseL25kernel_set_identity_arrayILj1024E21rocsparse_complex_numIdElEEvT1_PT0_: ; @_ZN9rocsparseL25kernel_set_identity_arrayILj1024E21rocsparse_complex_numIdElEEvT1_PT0_
; %bb.0:
	s_clause 0x1
	s_load_b32 s2, s[0:1], 0x1c
	s_load_b128 s[4:7], s[0:1], 0x0
	s_wait_xcnt 0x0
	s_bfe_u32 s0, ttmp6, 0x4000c
	s_and_b32 s1, ttmp6, 15
	s_add_co_i32 s0, s0, 1
	s_getreg_b32 s3, hwreg(HW_REG_IB_STS2, 6, 4)
	s_mul_i32 s0, ttmp9, s0
	v_mov_b32_e32 v3, 0
	s_add_co_i32 s1, s1, s0
	s_wait_kmcnt 0x0
	s_and_b32 s2, s2, 0xffff
	s_cmp_eq_u32 s3, 0
	s_cselect_b32 s0, ttmp9, s1
	s_delay_alu instid0(SALU_CYCLE_1) | instskip(SKIP_1) | instid1(VALU_DEP_1)
	v_mad_u32 v2, s0, s2, v0
	s_mov_b32 s0, exec_lo
	v_cmpx_gt_i64_e64 s[4:5], v[2:3]
	s_cbranch_execz .LBB51_2
; %bb.1:
	v_lshl_add_u64 v[4:5], v[2:3], 4, s[6:7]
	v_dual_mov_b32 v1, 0x3ff00000 :: v_dual_mov_b32 v0, v3
	v_mov_b32_e32 v2, v3
	global_store_b128 v[4:5], v[0:3], off
.LBB51_2:
	s_endpgm
	.section	.rodata,"a",@progbits
	.p2align	6, 0x0
	.amdhsa_kernel _ZN9rocsparseL25kernel_set_identity_arrayILj1024E21rocsparse_complex_numIdElEEvT1_PT0_
		.amdhsa_group_segment_fixed_size 0
		.amdhsa_private_segment_fixed_size 0
		.amdhsa_kernarg_size 272
		.amdhsa_user_sgpr_count 2
		.amdhsa_user_sgpr_dispatch_ptr 0
		.amdhsa_user_sgpr_queue_ptr 0
		.amdhsa_user_sgpr_kernarg_segment_ptr 1
		.amdhsa_user_sgpr_dispatch_id 0
		.amdhsa_user_sgpr_kernarg_preload_length 0
		.amdhsa_user_sgpr_kernarg_preload_offset 0
		.amdhsa_user_sgpr_private_segment_size 0
		.amdhsa_wavefront_size32 1
		.amdhsa_uses_dynamic_stack 0
		.amdhsa_enable_private_segment 0
		.amdhsa_system_sgpr_workgroup_id_x 1
		.amdhsa_system_sgpr_workgroup_id_y 0
		.amdhsa_system_sgpr_workgroup_id_z 0
		.amdhsa_system_sgpr_workgroup_info 0
		.amdhsa_system_vgpr_workitem_id 0
		.amdhsa_next_free_vgpr 6
		.amdhsa_next_free_sgpr 8
		.amdhsa_named_barrier_count 0
		.amdhsa_reserve_vcc 0
		.amdhsa_float_round_mode_32 0
		.amdhsa_float_round_mode_16_64 0
		.amdhsa_float_denorm_mode_32 3
		.amdhsa_float_denorm_mode_16_64 3
		.amdhsa_fp16_overflow 0
		.amdhsa_memory_ordered 1
		.amdhsa_forward_progress 1
		.amdhsa_inst_pref_size 2
		.amdhsa_round_robin_scheduling 0
		.amdhsa_exception_fp_ieee_invalid_op 0
		.amdhsa_exception_fp_denorm_src 0
		.amdhsa_exception_fp_ieee_div_zero 0
		.amdhsa_exception_fp_ieee_overflow 0
		.amdhsa_exception_fp_ieee_underflow 0
		.amdhsa_exception_fp_ieee_inexact 0
		.amdhsa_exception_int_div_zero 0
	.end_amdhsa_kernel
	.section	.text._ZN9rocsparseL25kernel_set_identity_arrayILj1024E21rocsparse_complex_numIdElEEvT1_PT0_,"axG",@progbits,_ZN9rocsparseL25kernel_set_identity_arrayILj1024E21rocsparse_complex_numIdElEEvT1_PT0_,comdat
.Lfunc_end51:
	.size	_ZN9rocsparseL25kernel_set_identity_arrayILj1024E21rocsparse_complex_numIdElEEvT1_PT0_, .Lfunc_end51-_ZN9rocsparseL25kernel_set_identity_arrayILj1024E21rocsparse_complex_numIdElEEvT1_PT0_
                                        ; -- End function
	.set _ZN9rocsparseL25kernel_set_identity_arrayILj1024E21rocsparse_complex_numIdElEEvT1_PT0_.num_vgpr, 6
	.set _ZN9rocsparseL25kernel_set_identity_arrayILj1024E21rocsparse_complex_numIdElEEvT1_PT0_.num_agpr, 0
	.set _ZN9rocsparseL25kernel_set_identity_arrayILj1024E21rocsparse_complex_numIdElEEvT1_PT0_.numbered_sgpr, 8
	.set _ZN9rocsparseL25kernel_set_identity_arrayILj1024E21rocsparse_complex_numIdElEEvT1_PT0_.num_named_barrier, 0
	.set _ZN9rocsparseL25kernel_set_identity_arrayILj1024E21rocsparse_complex_numIdElEEvT1_PT0_.private_seg_size, 0
	.set _ZN9rocsparseL25kernel_set_identity_arrayILj1024E21rocsparse_complex_numIdElEEvT1_PT0_.uses_vcc, 0
	.set _ZN9rocsparseL25kernel_set_identity_arrayILj1024E21rocsparse_complex_numIdElEEvT1_PT0_.uses_flat_scratch, 0
	.set _ZN9rocsparseL25kernel_set_identity_arrayILj1024E21rocsparse_complex_numIdElEEvT1_PT0_.has_dyn_sized_stack, 0
	.set _ZN9rocsparseL25kernel_set_identity_arrayILj1024E21rocsparse_complex_numIdElEEvT1_PT0_.has_recursion, 0
	.set _ZN9rocsparseL25kernel_set_identity_arrayILj1024E21rocsparse_complex_numIdElEEvT1_PT0_.has_indirect_call, 0
	.section	.AMDGPU.csdata,"",@progbits
; Kernel info:
; codeLenInByte = 144
; TotalNumSgprs: 8
; NumVgprs: 6
; ScratchSize: 0
; MemoryBound: 0
; FloatMode: 240
; IeeeMode: 1
; LDSByteSize: 0 bytes/workgroup (compile time only)
; SGPRBlocks: 0
; VGPRBlocks: 0
; NumSGPRsForWavesPerEU: 8
; NumVGPRsForWavesPerEU: 6
; NamedBarCnt: 0
; Occupancy: 16
; WaveLimiterHint : 0
; COMPUTE_PGM_RSRC2:SCRATCH_EN: 0
; COMPUTE_PGM_RSRC2:USER_SGPR: 2
; COMPUTE_PGM_RSRC2:TRAP_HANDLER: 0
; COMPUTE_PGM_RSRC2:TGID_X_EN: 1
; COMPUTE_PGM_RSRC2:TGID_Y_EN: 0
; COMPUTE_PGM_RSRC2:TGID_Z_EN: 0
; COMPUTE_PGM_RSRC2:TIDIG_COMP_CNT: 0
	.section	.text._ZN9rocsparseL25kernel_get_permuted_arrayILj1024E21rocsparse_complex_numIdElEEvT1_PKT0_PS4_PKS3_,"axG",@progbits,_ZN9rocsparseL25kernel_get_permuted_arrayILj1024E21rocsparse_complex_numIdElEEvT1_PKT0_PS4_PKS3_,comdat
	.globl	_ZN9rocsparseL25kernel_get_permuted_arrayILj1024E21rocsparse_complex_numIdElEEvT1_PKT0_PS4_PKS3_ ; -- Begin function _ZN9rocsparseL25kernel_get_permuted_arrayILj1024E21rocsparse_complex_numIdElEEvT1_PKT0_PS4_PKS3_
	.p2align	8
	.type	_ZN9rocsparseL25kernel_get_permuted_arrayILj1024E21rocsparse_complex_numIdElEEvT1_PKT0_PS4_PKS3_,@function
_ZN9rocsparseL25kernel_get_permuted_arrayILj1024E21rocsparse_complex_numIdElEEvT1_PKT0_PS4_PKS3_: ; @_ZN9rocsparseL25kernel_get_permuted_arrayILj1024E21rocsparse_complex_numIdElEEvT1_PKT0_PS4_PKS3_
; %bb.0:
	s_load_b32 s2, s[0:1], 0x2c
	s_bfe_u32 s12, ttmp6, 0x4000c
	s_load_b256 s[4:11], s[0:1], 0x0
	s_add_co_i32 s12, s12, 1
	s_and_b32 s3, ttmp6, 15
	s_wait_xcnt 0x0
	s_mul_i32 s1, ttmp9, s12
	s_getreg_b32 s0, hwreg(HW_REG_IB_STS2, 6, 4)
	s_add_co_i32 s3, s3, s1
	v_mov_b32_e32 v1, 0
	s_wait_kmcnt 0x0
	s_and_b32 s2, s2, 0xffff
	s_cmp_eq_u32 s0, 0
	s_cselect_b32 s0, ttmp9, s3
	s_delay_alu instid0(SALU_CYCLE_1) | instskip(SKIP_1) | instid1(VALU_DEP_1)
	v_mad_u32 v0, s0, s2, v0
	s_mov_b32 s0, exec_lo
	v_cmpx_gt_i64_e64 s[4:5], v[0:1]
	s_cbranch_execz .LBB52_2
; %bb.1:
	v_lshl_add_u64 v[2:3], v[0:1], 3, s[10:11]
	v_lshl_add_u64 v[0:1], v[0:1], 4, s[8:9]
	global_load_b64 v[2:3], v[2:3], off
	s_wait_loadcnt 0x0
	v_lshl_add_u64 v[2:3], v[2:3], 4, s[6:7]
	global_load_b128 v[2:5], v[2:3], off
	s_wait_loadcnt 0x0
	global_store_b128 v[0:1], v[2:5], off
.LBB52_2:
	s_endpgm
	.section	.rodata,"a",@progbits
	.p2align	6, 0x0
	.amdhsa_kernel _ZN9rocsparseL25kernel_get_permuted_arrayILj1024E21rocsparse_complex_numIdElEEvT1_PKT0_PS4_PKS3_
		.amdhsa_group_segment_fixed_size 0
		.amdhsa_private_segment_fixed_size 0
		.amdhsa_kernarg_size 288
		.amdhsa_user_sgpr_count 2
		.amdhsa_user_sgpr_dispatch_ptr 0
		.amdhsa_user_sgpr_queue_ptr 0
		.amdhsa_user_sgpr_kernarg_segment_ptr 1
		.amdhsa_user_sgpr_dispatch_id 0
		.amdhsa_user_sgpr_kernarg_preload_length 0
		.amdhsa_user_sgpr_kernarg_preload_offset 0
		.amdhsa_user_sgpr_private_segment_size 0
		.amdhsa_wavefront_size32 1
		.amdhsa_uses_dynamic_stack 0
		.amdhsa_enable_private_segment 0
		.amdhsa_system_sgpr_workgroup_id_x 1
		.amdhsa_system_sgpr_workgroup_id_y 0
		.amdhsa_system_sgpr_workgroup_id_z 0
		.amdhsa_system_sgpr_workgroup_info 0
		.amdhsa_system_vgpr_workitem_id 0
		.amdhsa_next_free_vgpr 6
		.amdhsa_next_free_sgpr 13
		.amdhsa_named_barrier_count 0
		.amdhsa_reserve_vcc 0
		.amdhsa_float_round_mode_32 0
		.amdhsa_float_round_mode_16_64 0
		.amdhsa_float_denorm_mode_32 3
		.amdhsa_float_denorm_mode_16_64 3
		.amdhsa_fp16_overflow 0
		.amdhsa_memory_ordered 1
		.amdhsa_forward_progress 1
		.amdhsa_inst_pref_size 2
		.amdhsa_round_robin_scheduling 0
		.amdhsa_exception_fp_ieee_invalid_op 0
		.amdhsa_exception_fp_denorm_src 0
		.amdhsa_exception_fp_ieee_div_zero 0
		.amdhsa_exception_fp_ieee_overflow 0
		.amdhsa_exception_fp_ieee_underflow 0
		.amdhsa_exception_fp_ieee_inexact 0
		.amdhsa_exception_int_div_zero 0
	.end_amdhsa_kernel
	.section	.text._ZN9rocsparseL25kernel_get_permuted_arrayILj1024E21rocsparse_complex_numIdElEEvT1_PKT0_PS4_PKS3_,"axG",@progbits,_ZN9rocsparseL25kernel_get_permuted_arrayILj1024E21rocsparse_complex_numIdElEEvT1_PKT0_PS4_PKS3_,comdat
.Lfunc_end52:
	.size	_ZN9rocsparseL25kernel_get_permuted_arrayILj1024E21rocsparse_complex_numIdElEEvT1_PKT0_PS4_PKS3_, .Lfunc_end52-_ZN9rocsparseL25kernel_get_permuted_arrayILj1024E21rocsparse_complex_numIdElEEvT1_PKT0_PS4_PKS3_
                                        ; -- End function
	.set _ZN9rocsparseL25kernel_get_permuted_arrayILj1024E21rocsparse_complex_numIdElEEvT1_PKT0_PS4_PKS3_.num_vgpr, 6
	.set _ZN9rocsparseL25kernel_get_permuted_arrayILj1024E21rocsparse_complex_numIdElEEvT1_PKT0_PS4_PKS3_.num_agpr, 0
	.set _ZN9rocsparseL25kernel_get_permuted_arrayILj1024E21rocsparse_complex_numIdElEEvT1_PKT0_PS4_PKS3_.numbered_sgpr, 13
	.set _ZN9rocsparseL25kernel_get_permuted_arrayILj1024E21rocsparse_complex_numIdElEEvT1_PKT0_PS4_PKS3_.num_named_barrier, 0
	.set _ZN9rocsparseL25kernel_get_permuted_arrayILj1024E21rocsparse_complex_numIdElEEvT1_PKT0_PS4_PKS3_.private_seg_size, 0
	.set _ZN9rocsparseL25kernel_get_permuted_arrayILj1024E21rocsparse_complex_numIdElEEvT1_PKT0_PS4_PKS3_.uses_vcc, 0
	.set _ZN9rocsparseL25kernel_get_permuted_arrayILj1024E21rocsparse_complex_numIdElEEvT1_PKT0_PS4_PKS3_.uses_flat_scratch, 0
	.set _ZN9rocsparseL25kernel_get_permuted_arrayILj1024E21rocsparse_complex_numIdElEEvT1_PKT0_PS4_PKS3_.has_dyn_sized_stack, 0
	.set _ZN9rocsparseL25kernel_get_permuted_arrayILj1024E21rocsparse_complex_numIdElEEvT1_PKT0_PS4_PKS3_.has_recursion, 0
	.set _ZN9rocsparseL25kernel_get_permuted_arrayILj1024E21rocsparse_complex_numIdElEEvT1_PKT0_PS4_PKS3_.has_indirect_call, 0
	.section	.AMDGPU.csdata,"",@progbits
; Kernel info:
; codeLenInByte = 172
; TotalNumSgprs: 13
; NumVgprs: 6
; ScratchSize: 0
; MemoryBound: 0
; FloatMode: 240
; IeeeMode: 1
; LDSByteSize: 0 bytes/workgroup (compile time only)
; SGPRBlocks: 0
; VGPRBlocks: 0
; NumSGPRsForWavesPerEU: 13
; NumVGPRsForWavesPerEU: 6
; NamedBarCnt: 0
; Occupancy: 16
; WaveLimiterHint : 0
; COMPUTE_PGM_RSRC2:SCRATCH_EN: 0
; COMPUTE_PGM_RSRC2:USER_SGPR: 2
; COMPUTE_PGM_RSRC2:TRAP_HANDLER: 0
; COMPUTE_PGM_RSRC2:TGID_X_EN: 1
; COMPUTE_PGM_RSRC2:TGID_Y_EN: 0
; COMPUTE_PGM_RSRC2:TGID_Z_EN: 0
; COMPUTE_PGM_RSRC2:TIDIG_COMP_CNT: 0
	.section	.text._ZN9rocsparseL25kernel_set_permuted_arrayILj1024E21rocsparse_complex_numIdElEEvT1_PT0_PKS4_PKS3_,"axG",@progbits,_ZN9rocsparseL25kernel_set_permuted_arrayILj1024E21rocsparse_complex_numIdElEEvT1_PT0_PKS4_PKS3_,comdat
	.globl	_ZN9rocsparseL25kernel_set_permuted_arrayILj1024E21rocsparse_complex_numIdElEEvT1_PT0_PKS4_PKS3_ ; -- Begin function _ZN9rocsparseL25kernel_set_permuted_arrayILj1024E21rocsparse_complex_numIdElEEvT1_PT0_PKS4_PKS3_
	.p2align	8
	.type	_ZN9rocsparseL25kernel_set_permuted_arrayILj1024E21rocsparse_complex_numIdElEEvT1_PT0_PKS4_PKS3_,@function
_ZN9rocsparseL25kernel_set_permuted_arrayILj1024E21rocsparse_complex_numIdElEEvT1_PT0_PKS4_PKS3_: ; @_ZN9rocsparseL25kernel_set_permuted_arrayILj1024E21rocsparse_complex_numIdElEEvT1_PT0_PKS4_PKS3_
; %bb.0:
	s_load_b32 s2, s[0:1], 0x2c
	s_bfe_u32 s12, ttmp6, 0x4000c
	s_load_b256 s[4:11], s[0:1], 0x0
	s_add_co_i32 s12, s12, 1
	s_and_b32 s3, ttmp6, 15
	s_wait_xcnt 0x0
	s_mul_i32 s1, ttmp9, s12
	s_getreg_b32 s0, hwreg(HW_REG_IB_STS2, 6, 4)
	s_add_co_i32 s3, s3, s1
	v_mov_b32_e32 v1, 0
	s_wait_kmcnt 0x0
	s_and_b32 s2, s2, 0xffff
	s_cmp_eq_u32 s0, 0
	s_cselect_b32 s0, ttmp9, s3
	s_delay_alu instid0(SALU_CYCLE_1) | instskip(SKIP_1) | instid1(VALU_DEP_1)
	v_mad_u32 v0, s0, s2, v0
	s_mov_b32 s0, exec_lo
	v_cmpx_gt_i64_e64 s[4:5], v[0:1]
	s_cbranch_execz .LBB53_2
; %bb.1:
	v_lshl_add_u64 v[4:5], v[0:1], 3, s[10:11]
	v_lshl_add_u64 v[6:7], v[0:1], 4, s[8:9]
	global_load_b64 v[8:9], v[4:5], off
	global_load_b128 v[0:3], v[6:7], off
	s_wait_loadcnt 0x1
	s_wait_xcnt 0x1
	v_lshl_add_u64 v[4:5], v[8:9], 4, s[6:7]
	s_wait_loadcnt 0x0
	global_store_b128 v[4:5], v[0:3], off
.LBB53_2:
	s_endpgm
	.section	.rodata,"a",@progbits
	.p2align	6, 0x0
	.amdhsa_kernel _ZN9rocsparseL25kernel_set_permuted_arrayILj1024E21rocsparse_complex_numIdElEEvT1_PT0_PKS4_PKS3_
		.amdhsa_group_segment_fixed_size 0
		.amdhsa_private_segment_fixed_size 0
		.amdhsa_kernarg_size 288
		.amdhsa_user_sgpr_count 2
		.amdhsa_user_sgpr_dispatch_ptr 0
		.amdhsa_user_sgpr_queue_ptr 0
		.amdhsa_user_sgpr_kernarg_segment_ptr 1
		.amdhsa_user_sgpr_dispatch_id 0
		.amdhsa_user_sgpr_kernarg_preload_length 0
		.amdhsa_user_sgpr_kernarg_preload_offset 0
		.amdhsa_user_sgpr_private_segment_size 0
		.amdhsa_wavefront_size32 1
		.amdhsa_uses_dynamic_stack 0
		.amdhsa_enable_private_segment 0
		.amdhsa_system_sgpr_workgroup_id_x 1
		.amdhsa_system_sgpr_workgroup_id_y 0
		.amdhsa_system_sgpr_workgroup_id_z 0
		.amdhsa_system_sgpr_workgroup_info 0
		.amdhsa_system_vgpr_workitem_id 0
		.amdhsa_next_free_vgpr 10
		.amdhsa_next_free_sgpr 13
		.amdhsa_named_barrier_count 0
		.amdhsa_reserve_vcc 0
		.amdhsa_float_round_mode_32 0
		.amdhsa_float_round_mode_16_64 0
		.amdhsa_float_denorm_mode_32 3
		.amdhsa_float_denorm_mode_16_64 3
		.amdhsa_fp16_overflow 0
		.amdhsa_memory_ordered 1
		.amdhsa_forward_progress 1
		.amdhsa_inst_pref_size 2
		.amdhsa_round_robin_scheduling 0
		.amdhsa_exception_fp_ieee_invalid_op 0
		.amdhsa_exception_fp_denorm_src 0
		.amdhsa_exception_fp_ieee_div_zero 0
		.amdhsa_exception_fp_ieee_overflow 0
		.amdhsa_exception_fp_ieee_underflow 0
		.amdhsa_exception_fp_ieee_inexact 0
		.amdhsa_exception_int_div_zero 0
	.end_amdhsa_kernel
	.section	.text._ZN9rocsparseL25kernel_set_permuted_arrayILj1024E21rocsparse_complex_numIdElEEvT1_PT0_PKS4_PKS3_,"axG",@progbits,_ZN9rocsparseL25kernel_set_permuted_arrayILj1024E21rocsparse_complex_numIdElEEvT1_PT0_PKS4_PKS3_,comdat
.Lfunc_end53:
	.size	_ZN9rocsparseL25kernel_set_permuted_arrayILj1024E21rocsparse_complex_numIdElEEvT1_PT0_PKS4_PKS3_, .Lfunc_end53-_ZN9rocsparseL25kernel_set_permuted_arrayILj1024E21rocsparse_complex_numIdElEEvT1_PT0_PKS4_PKS3_
                                        ; -- End function
	.set _ZN9rocsparseL25kernel_set_permuted_arrayILj1024E21rocsparse_complex_numIdElEEvT1_PT0_PKS4_PKS3_.num_vgpr, 10
	.set _ZN9rocsparseL25kernel_set_permuted_arrayILj1024E21rocsparse_complex_numIdElEEvT1_PT0_PKS4_PKS3_.num_agpr, 0
	.set _ZN9rocsparseL25kernel_set_permuted_arrayILj1024E21rocsparse_complex_numIdElEEvT1_PT0_PKS4_PKS3_.numbered_sgpr, 13
	.set _ZN9rocsparseL25kernel_set_permuted_arrayILj1024E21rocsparse_complex_numIdElEEvT1_PT0_PKS4_PKS3_.num_named_barrier, 0
	.set _ZN9rocsparseL25kernel_set_permuted_arrayILj1024E21rocsparse_complex_numIdElEEvT1_PT0_PKS4_PKS3_.private_seg_size, 0
	.set _ZN9rocsparseL25kernel_set_permuted_arrayILj1024E21rocsparse_complex_numIdElEEvT1_PT0_PKS4_PKS3_.uses_vcc, 0
	.set _ZN9rocsparseL25kernel_set_permuted_arrayILj1024E21rocsparse_complex_numIdElEEvT1_PT0_PKS4_PKS3_.uses_flat_scratch, 0
	.set _ZN9rocsparseL25kernel_set_permuted_arrayILj1024E21rocsparse_complex_numIdElEEvT1_PT0_PKS4_PKS3_.has_dyn_sized_stack, 0
	.set _ZN9rocsparseL25kernel_set_permuted_arrayILj1024E21rocsparse_complex_numIdElEEvT1_PT0_PKS4_PKS3_.has_recursion, 0
	.set _ZN9rocsparseL25kernel_set_permuted_arrayILj1024E21rocsparse_complex_numIdElEEvT1_PT0_PKS4_PKS3_.has_indirect_call, 0
	.section	.AMDGPU.csdata,"",@progbits
; Kernel info:
; codeLenInByte = 176
; TotalNumSgprs: 13
; NumVgprs: 10
; ScratchSize: 0
; MemoryBound: 0
; FloatMode: 240
; IeeeMode: 1
; LDSByteSize: 0 bytes/workgroup (compile time only)
; SGPRBlocks: 0
; VGPRBlocks: 0
; NumSGPRsForWavesPerEU: 13
; NumVGPRsForWavesPerEU: 10
; NamedBarCnt: 0
; Occupancy: 16
; WaveLimiterHint : 1
; COMPUTE_PGM_RSRC2:SCRATCH_EN: 0
; COMPUTE_PGM_RSRC2:USER_SGPR: 2
; COMPUTE_PGM_RSRC2:TRAP_HANDLER: 0
; COMPUTE_PGM_RSRC2:TGID_X_EN: 1
; COMPUTE_PGM_RSRC2:TGID_Y_EN: 0
; COMPUTE_PGM_RSRC2:TGID_Z_EN: 0
; COMPUTE_PGM_RSRC2:TIDIG_COMP_CNT: 0
	.section	.text._ZN9rocsparseL25kernel_set_identity_arrayILj256EflEEvT1_PT0_,"axG",@progbits,_ZN9rocsparseL25kernel_set_identity_arrayILj256EflEEvT1_PT0_,comdat
	.globl	_ZN9rocsparseL25kernel_set_identity_arrayILj256EflEEvT1_PT0_ ; -- Begin function _ZN9rocsparseL25kernel_set_identity_arrayILj256EflEEvT1_PT0_
	.p2align	8
	.type	_ZN9rocsparseL25kernel_set_identity_arrayILj256EflEEvT1_PT0_,@function
_ZN9rocsparseL25kernel_set_identity_arrayILj256EflEEvT1_PT0_: ; @_ZN9rocsparseL25kernel_set_identity_arrayILj256EflEEvT1_PT0_
; %bb.0:
	s_clause 0x1
	s_load_b32 s2, s[0:1], 0x1c
	s_load_b128 s[4:7], s[0:1], 0x0
	s_wait_xcnt 0x0
	s_bfe_u32 s0, ttmp6, 0x4000c
	s_and_b32 s1, ttmp6, 15
	s_add_co_i32 s0, s0, 1
	s_getreg_b32 s3, hwreg(HW_REG_IB_STS2, 6, 4)
	s_mul_i32 s0, ttmp9, s0
	v_mov_b32_e32 v1, 0
	s_add_co_i32 s1, s1, s0
	s_wait_kmcnt 0x0
	s_and_b32 s2, s2, 0xffff
	s_cmp_eq_u32 s3, 0
	s_cselect_b32 s0, ttmp9, s1
	s_delay_alu instid0(SALU_CYCLE_1) | instskip(SKIP_1) | instid1(VALU_DEP_1)
	v_mad_u32 v0, s0, s2, v0
	s_mov_b32 s0, exec_lo
	v_cmpx_gt_i64_e64 s[4:5], v[0:1]
	s_cbranch_execz .LBB54_2
; %bb.1:
	v_lshl_add_u64 v[0:1], v[0:1], 2, s[6:7]
	v_mov_b32_e32 v2, 1.0
	global_store_b32 v[0:1], v2, off
.LBB54_2:
	s_endpgm
	.section	.rodata,"a",@progbits
	.p2align	6, 0x0
	.amdhsa_kernel _ZN9rocsparseL25kernel_set_identity_arrayILj256EflEEvT1_PT0_
		.amdhsa_group_segment_fixed_size 0
		.amdhsa_private_segment_fixed_size 0
		.amdhsa_kernarg_size 272
		.amdhsa_user_sgpr_count 2
		.amdhsa_user_sgpr_dispatch_ptr 0
		.amdhsa_user_sgpr_queue_ptr 0
		.amdhsa_user_sgpr_kernarg_segment_ptr 1
		.amdhsa_user_sgpr_dispatch_id 0
		.amdhsa_user_sgpr_kernarg_preload_length 0
		.amdhsa_user_sgpr_kernarg_preload_offset 0
		.amdhsa_user_sgpr_private_segment_size 0
		.amdhsa_wavefront_size32 1
		.amdhsa_uses_dynamic_stack 0
		.amdhsa_enable_private_segment 0
		.amdhsa_system_sgpr_workgroup_id_x 1
		.amdhsa_system_sgpr_workgroup_id_y 0
		.amdhsa_system_sgpr_workgroup_id_z 0
		.amdhsa_system_sgpr_workgroup_info 0
		.amdhsa_system_vgpr_workitem_id 0
		.amdhsa_next_free_vgpr 3
		.amdhsa_next_free_sgpr 8
		.amdhsa_named_barrier_count 0
		.amdhsa_reserve_vcc 0
		.amdhsa_float_round_mode_32 0
		.amdhsa_float_round_mode_16_64 0
		.amdhsa_float_denorm_mode_32 3
		.amdhsa_float_denorm_mode_16_64 3
		.amdhsa_fp16_overflow 0
		.amdhsa_memory_ordered 1
		.amdhsa_forward_progress 1
		.amdhsa_inst_pref_size 2
		.amdhsa_round_robin_scheduling 0
		.amdhsa_exception_fp_ieee_invalid_op 0
		.amdhsa_exception_fp_denorm_src 0
		.amdhsa_exception_fp_ieee_div_zero 0
		.amdhsa_exception_fp_ieee_overflow 0
		.amdhsa_exception_fp_ieee_underflow 0
		.amdhsa_exception_fp_ieee_inexact 0
		.amdhsa_exception_int_div_zero 0
	.end_amdhsa_kernel
	.section	.text._ZN9rocsparseL25kernel_set_identity_arrayILj256EflEEvT1_PT0_,"axG",@progbits,_ZN9rocsparseL25kernel_set_identity_arrayILj256EflEEvT1_PT0_,comdat
.Lfunc_end54:
	.size	_ZN9rocsparseL25kernel_set_identity_arrayILj256EflEEvT1_PT0_, .Lfunc_end54-_ZN9rocsparseL25kernel_set_identity_arrayILj256EflEEvT1_PT0_
                                        ; -- End function
	.set _ZN9rocsparseL25kernel_set_identity_arrayILj256EflEEvT1_PT0_.num_vgpr, 3
	.set _ZN9rocsparseL25kernel_set_identity_arrayILj256EflEEvT1_PT0_.num_agpr, 0
	.set _ZN9rocsparseL25kernel_set_identity_arrayILj256EflEEvT1_PT0_.numbered_sgpr, 8
	.set _ZN9rocsparseL25kernel_set_identity_arrayILj256EflEEvT1_PT0_.num_named_barrier, 0
	.set _ZN9rocsparseL25kernel_set_identity_arrayILj256EflEEvT1_PT0_.private_seg_size, 0
	.set _ZN9rocsparseL25kernel_set_identity_arrayILj256EflEEvT1_PT0_.uses_vcc, 0
	.set _ZN9rocsparseL25kernel_set_identity_arrayILj256EflEEvT1_PT0_.uses_flat_scratch, 0
	.set _ZN9rocsparseL25kernel_set_identity_arrayILj256EflEEvT1_PT0_.has_dyn_sized_stack, 0
	.set _ZN9rocsparseL25kernel_set_identity_arrayILj256EflEEvT1_PT0_.has_recursion, 0
	.set _ZN9rocsparseL25kernel_set_identity_arrayILj256EflEEvT1_PT0_.has_indirect_call, 0
	.section	.AMDGPU.csdata,"",@progbits
; Kernel info:
; codeLenInByte = 132
; TotalNumSgprs: 8
; NumVgprs: 3
; ScratchSize: 0
; MemoryBound: 0
; FloatMode: 240
; IeeeMode: 1
; LDSByteSize: 0 bytes/workgroup (compile time only)
; SGPRBlocks: 0
; VGPRBlocks: 0
; NumSGPRsForWavesPerEU: 8
; NumVGPRsForWavesPerEU: 3
; NamedBarCnt: 0
; Occupancy: 16
; WaveLimiterHint : 0
; COMPUTE_PGM_RSRC2:SCRATCH_EN: 0
; COMPUTE_PGM_RSRC2:USER_SGPR: 2
; COMPUTE_PGM_RSRC2:TRAP_HANDLER: 0
; COMPUTE_PGM_RSRC2:TGID_X_EN: 1
; COMPUTE_PGM_RSRC2:TGID_Y_EN: 0
; COMPUTE_PGM_RSRC2:TGID_Z_EN: 0
; COMPUTE_PGM_RSRC2:TIDIG_COMP_CNT: 0
	.section	.text._ZN9rocsparseL25kernel_get_permuted_arrayILj256EflEEvT1_PKT0_PS2_PKS1_,"axG",@progbits,_ZN9rocsparseL25kernel_get_permuted_arrayILj256EflEEvT1_PKT0_PS2_PKS1_,comdat
	.globl	_ZN9rocsparseL25kernel_get_permuted_arrayILj256EflEEvT1_PKT0_PS2_PKS1_ ; -- Begin function _ZN9rocsparseL25kernel_get_permuted_arrayILj256EflEEvT1_PKT0_PS2_PKS1_
	.p2align	8
	.type	_ZN9rocsparseL25kernel_get_permuted_arrayILj256EflEEvT1_PKT0_PS2_PKS1_,@function
_ZN9rocsparseL25kernel_get_permuted_arrayILj256EflEEvT1_PKT0_PS2_PKS1_: ; @_ZN9rocsparseL25kernel_get_permuted_arrayILj256EflEEvT1_PKT0_PS2_PKS1_
; %bb.0:
	s_load_b32 s2, s[0:1], 0x2c
	s_bfe_u32 s12, ttmp6, 0x4000c
	s_load_b256 s[4:11], s[0:1], 0x0
	s_add_co_i32 s12, s12, 1
	s_and_b32 s3, ttmp6, 15
	s_wait_xcnt 0x0
	s_mul_i32 s1, ttmp9, s12
	s_getreg_b32 s0, hwreg(HW_REG_IB_STS2, 6, 4)
	s_add_co_i32 s3, s3, s1
	v_mov_b32_e32 v1, 0
	s_wait_kmcnt 0x0
	s_and_b32 s2, s2, 0xffff
	s_cmp_eq_u32 s0, 0
	s_cselect_b32 s0, ttmp9, s3
	s_delay_alu instid0(SALU_CYCLE_1) | instskip(SKIP_1) | instid1(VALU_DEP_1)
	v_mad_u32 v0, s0, s2, v0
	s_mov_b32 s0, exec_lo
	v_cmpx_gt_i64_e64 s[4:5], v[0:1]
	s_cbranch_execz .LBB55_2
; %bb.1:
	v_lshl_add_u64 v[2:3], v[0:1], 3, s[10:11]
	v_lshl_add_u64 v[0:1], v[0:1], 2, s[8:9]
	global_load_b64 v[2:3], v[2:3], off
	s_wait_loadcnt 0x0
	v_lshl_add_u64 v[2:3], v[2:3], 2, s[6:7]
	global_load_b32 v2, v[2:3], off
	s_wait_loadcnt 0x0
	global_store_b32 v[0:1], v2, off
.LBB55_2:
	s_endpgm
	.section	.rodata,"a",@progbits
	.p2align	6, 0x0
	.amdhsa_kernel _ZN9rocsparseL25kernel_get_permuted_arrayILj256EflEEvT1_PKT0_PS2_PKS1_
		.amdhsa_group_segment_fixed_size 0
		.amdhsa_private_segment_fixed_size 0
		.amdhsa_kernarg_size 288
		.amdhsa_user_sgpr_count 2
		.amdhsa_user_sgpr_dispatch_ptr 0
		.amdhsa_user_sgpr_queue_ptr 0
		.amdhsa_user_sgpr_kernarg_segment_ptr 1
		.amdhsa_user_sgpr_dispatch_id 0
		.amdhsa_user_sgpr_kernarg_preload_length 0
		.amdhsa_user_sgpr_kernarg_preload_offset 0
		.amdhsa_user_sgpr_private_segment_size 0
		.amdhsa_wavefront_size32 1
		.amdhsa_uses_dynamic_stack 0
		.amdhsa_enable_private_segment 0
		.amdhsa_system_sgpr_workgroup_id_x 1
		.amdhsa_system_sgpr_workgroup_id_y 0
		.amdhsa_system_sgpr_workgroup_id_z 0
		.amdhsa_system_sgpr_workgroup_info 0
		.amdhsa_system_vgpr_workitem_id 0
		.amdhsa_next_free_vgpr 4
		.amdhsa_next_free_sgpr 13
		.amdhsa_named_barrier_count 0
		.amdhsa_reserve_vcc 0
		.amdhsa_float_round_mode_32 0
		.amdhsa_float_round_mode_16_64 0
		.amdhsa_float_denorm_mode_32 3
		.amdhsa_float_denorm_mode_16_64 3
		.amdhsa_fp16_overflow 0
		.amdhsa_memory_ordered 1
		.amdhsa_forward_progress 1
		.amdhsa_inst_pref_size 2
		.amdhsa_round_robin_scheduling 0
		.amdhsa_exception_fp_ieee_invalid_op 0
		.amdhsa_exception_fp_denorm_src 0
		.amdhsa_exception_fp_ieee_div_zero 0
		.amdhsa_exception_fp_ieee_overflow 0
		.amdhsa_exception_fp_ieee_underflow 0
		.amdhsa_exception_fp_ieee_inexact 0
		.amdhsa_exception_int_div_zero 0
	.end_amdhsa_kernel
	.section	.text._ZN9rocsparseL25kernel_get_permuted_arrayILj256EflEEvT1_PKT0_PS2_PKS1_,"axG",@progbits,_ZN9rocsparseL25kernel_get_permuted_arrayILj256EflEEvT1_PKT0_PS2_PKS1_,comdat
.Lfunc_end55:
	.size	_ZN9rocsparseL25kernel_get_permuted_arrayILj256EflEEvT1_PKT0_PS2_PKS1_, .Lfunc_end55-_ZN9rocsparseL25kernel_get_permuted_arrayILj256EflEEvT1_PKT0_PS2_PKS1_
                                        ; -- End function
	.set _ZN9rocsparseL25kernel_get_permuted_arrayILj256EflEEvT1_PKT0_PS2_PKS1_.num_vgpr, 4
	.set _ZN9rocsparseL25kernel_get_permuted_arrayILj256EflEEvT1_PKT0_PS2_PKS1_.num_agpr, 0
	.set _ZN9rocsparseL25kernel_get_permuted_arrayILj256EflEEvT1_PKT0_PS2_PKS1_.numbered_sgpr, 13
	.set _ZN9rocsparseL25kernel_get_permuted_arrayILj256EflEEvT1_PKT0_PS2_PKS1_.num_named_barrier, 0
	.set _ZN9rocsparseL25kernel_get_permuted_arrayILj256EflEEvT1_PKT0_PS2_PKS1_.private_seg_size, 0
	.set _ZN9rocsparseL25kernel_get_permuted_arrayILj256EflEEvT1_PKT0_PS2_PKS1_.uses_vcc, 0
	.set _ZN9rocsparseL25kernel_get_permuted_arrayILj256EflEEvT1_PKT0_PS2_PKS1_.uses_flat_scratch, 0
	.set _ZN9rocsparseL25kernel_get_permuted_arrayILj256EflEEvT1_PKT0_PS2_PKS1_.has_dyn_sized_stack, 0
	.set _ZN9rocsparseL25kernel_get_permuted_arrayILj256EflEEvT1_PKT0_PS2_PKS1_.has_recursion, 0
	.set _ZN9rocsparseL25kernel_get_permuted_arrayILj256EflEEvT1_PKT0_PS2_PKS1_.has_indirect_call, 0
	.section	.AMDGPU.csdata,"",@progbits
; Kernel info:
; codeLenInByte = 172
; TotalNumSgprs: 13
; NumVgprs: 4
; ScratchSize: 0
; MemoryBound: 0
; FloatMode: 240
; IeeeMode: 1
; LDSByteSize: 0 bytes/workgroup (compile time only)
; SGPRBlocks: 0
; VGPRBlocks: 0
; NumSGPRsForWavesPerEU: 13
; NumVGPRsForWavesPerEU: 4
; NamedBarCnt: 0
; Occupancy: 16
; WaveLimiterHint : 1
; COMPUTE_PGM_RSRC2:SCRATCH_EN: 0
; COMPUTE_PGM_RSRC2:USER_SGPR: 2
; COMPUTE_PGM_RSRC2:TRAP_HANDLER: 0
; COMPUTE_PGM_RSRC2:TGID_X_EN: 1
; COMPUTE_PGM_RSRC2:TGID_Y_EN: 0
; COMPUTE_PGM_RSRC2:TGID_Z_EN: 0
; COMPUTE_PGM_RSRC2:TIDIG_COMP_CNT: 0
	.section	.text._ZN9rocsparseL25kernel_set_permuted_arrayILj256EflEEvT1_PT0_PKS2_PKS1_,"axG",@progbits,_ZN9rocsparseL25kernel_set_permuted_arrayILj256EflEEvT1_PT0_PKS2_PKS1_,comdat
	.globl	_ZN9rocsparseL25kernel_set_permuted_arrayILj256EflEEvT1_PT0_PKS2_PKS1_ ; -- Begin function _ZN9rocsparseL25kernel_set_permuted_arrayILj256EflEEvT1_PT0_PKS2_PKS1_
	.p2align	8
	.type	_ZN9rocsparseL25kernel_set_permuted_arrayILj256EflEEvT1_PT0_PKS2_PKS1_,@function
_ZN9rocsparseL25kernel_set_permuted_arrayILj256EflEEvT1_PT0_PKS2_PKS1_: ; @_ZN9rocsparseL25kernel_set_permuted_arrayILj256EflEEvT1_PT0_PKS2_PKS1_
; %bb.0:
	s_load_b32 s2, s[0:1], 0x2c
	s_bfe_u32 s12, ttmp6, 0x4000c
	s_load_b256 s[4:11], s[0:1], 0x0
	s_add_co_i32 s12, s12, 1
	s_and_b32 s3, ttmp6, 15
	s_wait_xcnt 0x0
	s_mul_i32 s1, ttmp9, s12
	s_getreg_b32 s0, hwreg(HW_REG_IB_STS2, 6, 4)
	s_add_co_i32 s3, s3, s1
	v_mov_b32_e32 v1, 0
	s_wait_kmcnt 0x0
	s_and_b32 s2, s2, 0xffff
	s_cmp_eq_u32 s0, 0
	s_cselect_b32 s0, ttmp9, s3
	s_delay_alu instid0(SALU_CYCLE_1) | instskip(SKIP_1) | instid1(VALU_DEP_1)
	v_mad_u32 v0, s0, s2, v0
	s_mov_b32 s0, exec_lo
	v_cmpx_gt_i64_e64 s[4:5], v[0:1]
	s_cbranch_execz .LBB56_2
; %bb.1:
	v_lshl_add_u64 v[2:3], v[0:1], 3, s[10:11]
	v_lshl_add_u64 v[0:1], v[0:1], 2, s[8:9]
	global_load_b64 v[4:5], v[2:3], off
	global_load_b32 v6, v[0:1], off
	s_wait_loadcnt 0x1
	s_wait_xcnt 0x0
	v_lshl_add_u64 v[0:1], v[4:5], 2, s[6:7]
	s_wait_loadcnt 0x0
	global_store_b32 v[0:1], v6, off
.LBB56_2:
	s_endpgm
	.section	.rodata,"a",@progbits
	.p2align	6, 0x0
	.amdhsa_kernel _ZN9rocsparseL25kernel_set_permuted_arrayILj256EflEEvT1_PT0_PKS2_PKS1_
		.amdhsa_group_segment_fixed_size 0
		.amdhsa_private_segment_fixed_size 0
		.amdhsa_kernarg_size 288
		.amdhsa_user_sgpr_count 2
		.amdhsa_user_sgpr_dispatch_ptr 0
		.amdhsa_user_sgpr_queue_ptr 0
		.amdhsa_user_sgpr_kernarg_segment_ptr 1
		.amdhsa_user_sgpr_dispatch_id 0
		.amdhsa_user_sgpr_kernarg_preload_length 0
		.amdhsa_user_sgpr_kernarg_preload_offset 0
		.amdhsa_user_sgpr_private_segment_size 0
		.amdhsa_wavefront_size32 1
		.amdhsa_uses_dynamic_stack 0
		.amdhsa_enable_private_segment 0
		.amdhsa_system_sgpr_workgroup_id_x 1
		.amdhsa_system_sgpr_workgroup_id_y 0
		.amdhsa_system_sgpr_workgroup_id_z 0
		.amdhsa_system_sgpr_workgroup_info 0
		.amdhsa_system_vgpr_workitem_id 0
		.amdhsa_next_free_vgpr 7
		.amdhsa_next_free_sgpr 13
		.amdhsa_named_barrier_count 0
		.amdhsa_reserve_vcc 0
		.amdhsa_float_round_mode_32 0
		.amdhsa_float_round_mode_16_64 0
		.amdhsa_float_denorm_mode_32 3
		.amdhsa_float_denorm_mode_16_64 3
		.amdhsa_fp16_overflow 0
		.amdhsa_memory_ordered 1
		.amdhsa_forward_progress 1
		.amdhsa_inst_pref_size 2
		.amdhsa_round_robin_scheduling 0
		.amdhsa_exception_fp_ieee_invalid_op 0
		.amdhsa_exception_fp_denorm_src 0
		.amdhsa_exception_fp_ieee_div_zero 0
		.amdhsa_exception_fp_ieee_overflow 0
		.amdhsa_exception_fp_ieee_underflow 0
		.amdhsa_exception_fp_ieee_inexact 0
		.amdhsa_exception_int_div_zero 0
	.end_amdhsa_kernel
	.section	.text._ZN9rocsparseL25kernel_set_permuted_arrayILj256EflEEvT1_PT0_PKS2_PKS1_,"axG",@progbits,_ZN9rocsparseL25kernel_set_permuted_arrayILj256EflEEvT1_PT0_PKS2_PKS1_,comdat
.Lfunc_end56:
	.size	_ZN9rocsparseL25kernel_set_permuted_arrayILj256EflEEvT1_PT0_PKS2_PKS1_, .Lfunc_end56-_ZN9rocsparseL25kernel_set_permuted_arrayILj256EflEEvT1_PT0_PKS2_PKS1_
                                        ; -- End function
	.set _ZN9rocsparseL25kernel_set_permuted_arrayILj256EflEEvT1_PT0_PKS2_PKS1_.num_vgpr, 7
	.set _ZN9rocsparseL25kernel_set_permuted_arrayILj256EflEEvT1_PT0_PKS2_PKS1_.num_agpr, 0
	.set _ZN9rocsparseL25kernel_set_permuted_arrayILj256EflEEvT1_PT0_PKS2_PKS1_.numbered_sgpr, 13
	.set _ZN9rocsparseL25kernel_set_permuted_arrayILj256EflEEvT1_PT0_PKS2_PKS1_.num_named_barrier, 0
	.set _ZN9rocsparseL25kernel_set_permuted_arrayILj256EflEEvT1_PT0_PKS2_PKS1_.private_seg_size, 0
	.set _ZN9rocsparseL25kernel_set_permuted_arrayILj256EflEEvT1_PT0_PKS2_PKS1_.uses_vcc, 0
	.set _ZN9rocsparseL25kernel_set_permuted_arrayILj256EflEEvT1_PT0_PKS2_PKS1_.uses_flat_scratch, 0
	.set _ZN9rocsparseL25kernel_set_permuted_arrayILj256EflEEvT1_PT0_PKS2_PKS1_.has_dyn_sized_stack, 0
	.set _ZN9rocsparseL25kernel_set_permuted_arrayILj256EflEEvT1_PT0_PKS2_PKS1_.has_recursion, 0
	.set _ZN9rocsparseL25kernel_set_permuted_arrayILj256EflEEvT1_PT0_PKS2_PKS1_.has_indirect_call, 0
	.section	.AMDGPU.csdata,"",@progbits
; Kernel info:
; codeLenInByte = 176
; TotalNumSgprs: 13
; NumVgprs: 7
; ScratchSize: 0
; MemoryBound: 0
; FloatMode: 240
; IeeeMode: 1
; LDSByteSize: 0 bytes/workgroup (compile time only)
; SGPRBlocks: 0
; VGPRBlocks: 0
; NumSGPRsForWavesPerEU: 13
; NumVGPRsForWavesPerEU: 7
; NamedBarCnt: 0
; Occupancy: 16
; WaveLimiterHint : 1
; COMPUTE_PGM_RSRC2:SCRATCH_EN: 0
; COMPUTE_PGM_RSRC2:USER_SGPR: 2
; COMPUTE_PGM_RSRC2:TRAP_HANDLER: 0
; COMPUTE_PGM_RSRC2:TGID_X_EN: 1
; COMPUTE_PGM_RSRC2:TGID_Y_EN: 0
; COMPUTE_PGM_RSRC2:TGID_Z_EN: 0
; COMPUTE_PGM_RSRC2:TIDIG_COMP_CNT: 0
	.section	.text._ZN9rocsparseL25kernel_set_identity_arrayILj256EdlEEvT1_PT0_,"axG",@progbits,_ZN9rocsparseL25kernel_set_identity_arrayILj256EdlEEvT1_PT0_,comdat
	.globl	_ZN9rocsparseL25kernel_set_identity_arrayILj256EdlEEvT1_PT0_ ; -- Begin function _ZN9rocsparseL25kernel_set_identity_arrayILj256EdlEEvT1_PT0_
	.p2align	8
	.type	_ZN9rocsparseL25kernel_set_identity_arrayILj256EdlEEvT1_PT0_,@function
_ZN9rocsparseL25kernel_set_identity_arrayILj256EdlEEvT1_PT0_: ; @_ZN9rocsparseL25kernel_set_identity_arrayILj256EdlEEvT1_PT0_
; %bb.0:
	s_clause 0x1
	s_load_b32 s2, s[0:1], 0x1c
	s_load_b128 s[4:7], s[0:1], 0x0
	s_wait_xcnt 0x0
	s_bfe_u32 s0, ttmp6, 0x4000c
	s_and_b32 s1, ttmp6, 15
	s_add_co_i32 s0, s0, 1
	s_getreg_b32 s3, hwreg(HW_REG_IB_STS2, 6, 4)
	s_mul_i32 s0, ttmp9, s0
	v_mov_b32_e32 v1, 0
	s_add_co_i32 s1, s1, s0
	s_wait_kmcnt 0x0
	s_and_b32 s2, s2, 0xffff
	s_cmp_eq_u32 s3, 0
	s_cselect_b32 s0, ttmp9, s1
	s_delay_alu instid0(SALU_CYCLE_1) | instskip(SKIP_1) | instid1(VALU_DEP_1)
	v_mad_u32 v0, s0, s2, v0
	s_mov_b32 s0, exec_lo
	v_cmpx_gt_i64_e64 s[4:5], v[0:1]
	s_cbranch_execz .LBB57_2
; %bb.1:
	v_mov_b64_e32 v[2:3], 1.0
	v_lshl_add_u64 v[0:1], v[0:1], 3, s[6:7]
	global_store_b64 v[0:1], v[2:3], off
.LBB57_2:
	s_endpgm
	.section	.rodata,"a",@progbits
	.p2align	6, 0x0
	.amdhsa_kernel _ZN9rocsparseL25kernel_set_identity_arrayILj256EdlEEvT1_PT0_
		.amdhsa_group_segment_fixed_size 0
		.amdhsa_private_segment_fixed_size 0
		.amdhsa_kernarg_size 272
		.amdhsa_user_sgpr_count 2
		.amdhsa_user_sgpr_dispatch_ptr 0
		.amdhsa_user_sgpr_queue_ptr 0
		.amdhsa_user_sgpr_kernarg_segment_ptr 1
		.amdhsa_user_sgpr_dispatch_id 0
		.amdhsa_user_sgpr_kernarg_preload_length 0
		.amdhsa_user_sgpr_kernarg_preload_offset 0
		.amdhsa_user_sgpr_private_segment_size 0
		.amdhsa_wavefront_size32 1
		.amdhsa_uses_dynamic_stack 0
		.amdhsa_enable_private_segment 0
		.amdhsa_system_sgpr_workgroup_id_x 1
		.amdhsa_system_sgpr_workgroup_id_y 0
		.amdhsa_system_sgpr_workgroup_id_z 0
		.amdhsa_system_sgpr_workgroup_info 0
		.amdhsa_system_vgpr_workitem_id 0
		.amdhsa_next_free_vgpr 4
		.amdhsa_next_free_sgpr 8
		.amdhsa_named_barrier_count 0
		.amdhsa_reserve_vcc 0
		.amdhsa_float_round_mode_32 0
		.amdhsa_float_round_mode_16_64 0
		.amdhsa_float_denorm_mode_32 3
		.amdhsa_float_denorm_mode_16_64 3
		.amdhsa_fp16_overflow 0
		.amdhsa_memory_ordered 1
		.amdhsa_forward_progress 1
		.amdhsa_inst_pref_size 2
		.amdhsa_round_robin_scheduling 0
		.amdhsa_exception_fp_ieee_invalid_op 0
		.amdhsa_exception_fp_denorm_src 0
		.amdhsa_exception_fp_ieee_div_zero 0
		.amdhsa_exception_fp_ieee_overflow 0
		.amdhsa_exception_fp_ieee_underflow 0
		.amdhsa_exception_fp_ieee_inexact 0
		.amdhsa_exception_int_div_zero 0
	.end_amdhsa_kernel
	.section	.text._ZN9rocsparseL25kernel_set_identity_arrayILj256EdlEEvT1_PT0_,"axG",@progbits,_ZN9rocsparseL25kernel_set_identity_arrayILj256EdlEEvT1_PT0_,comdat
.Lfunc_end57:
	.size	_ZN9rocsparseL25kernel_set_identity_arrayILj256EdlEEvT1_PT0_, .Lfunc_end57-_ZN9rocsparseL25kernel_set_identity_arrayILj256EdlEEvT1_PT0_
                                        ; -- End function
	.set _ZN9rocsparseL25kernel_set_identity_arrayILj256EdlEEvT1_PT0_.num_vgpr, 4
	.set _ZN9rocsparseL25kernel_set_identity_arrayILj256EdlEEvT1_PT0_.num_agpr, 0
	.set _ZN9rocsparseL25kernel_set_identity_arrayILj256EdlEEvT1_PT0_.numbered_sgpr, 8
	.set _ZN9rocsparseL25kernel_set_identity_arrayILj256EdlEEvT1_PT0_.num_named_barrier, 0
	.set _ZN9rocsparseL25kernel_set_identity_arrayILj256EdlEEvT1_PT0_.private_seg_size, 0
	.set _ZN9rocsparseL25kernel_set_identity_arrayILj256EdlEEvT1_PT0_.uses_vcc, 0
	.set _ZN9rocsparseL25kernel_set_identity_arrayILj256EdlEEvT1_PT0_.uses_flat_scratch, 0
	.set _ZN9rocsparseL25kernel_set_identity_arrayILj256EdlEEvT1_PT0_.has_dyn_sized_stack, 0
	.set _ZN9rocsparseL25kernel_set_identity_arrayILj256EdlEEvT1_PT0_.has_recursion, 0
	.set _ZN9rocsparseL25kernel_set_identity_arrayILj256EdlEEvT1_PT0_.has_indirect_call, 0
	.section	.AMDGPU.csdata,"",@progbits
; Kernel info:
; codeLenInByte = 132
; TotalNumSgprs: 8
; NumVgprs: 4
; ScratchSize: 0
; MemoryBound: 0
; FloatMode: 240
; IeeeMode: 1
; LDSByteSize: 0 bytes/workgroup (compile time only)
; SGPRBlocks: 0
; VGPRBlocks: 0
; NumSGPRsForWavesPerEU: 8
; NumVGPRsForWavesPerEU: 4
; NamedBarCnt: 0
; Occupancy: 16
; WaveLimiterHint : 0
; COMPUTE_PGM_RSRC2:SCRATCH_EN: 0
; COMPUTE_PGM_RSRC2:USER_SGPR: 2
; COMPUTE_PGM_RSRC2:TRAP_HANDLER: 0
; COMPUTE_PGM_RSRC2:TGID_X_EN: 1
; COMPUTE_PGM_RSRC2:TGID_Y_EN: 0
; COMPUTE_PGM_RSRC2:TGID_Z_EN: 0
; COMPUTE_PGM_RSRC2:TIDIG_COMP_CNT: 0
	.section	.text._ZN9rocsparseL25kernel_get_permuted_arrayILj256EdlEEvT1_PKT0_PS2_PKS1_,"axG",@progbits,_ZN9rocsparseL25kernel_get_permuted_arrayILj256EdlEEvT1_PKT0_PS2_PKS1_,comdat
	.globl	_ZN9rocsparseL25kernel_get_permuted_arrayILj256EdlEEvT1_PKT0_PS2_PKS1_ ; -- Begin function _ZN9rocsparseL25kernel_get_permuted_arrayILj256EdlEEvT1_PKT0_PS2_PKS1_
	.p2align	8
	.type	_ZN9rocsparseL25kernel_get_permuted_arrayILj256EdlEEvT1_PKT0_PS2_PKS1_,@function
_ZN9rocsparseL25kernel_get_permuted_arrayILj256EdlEEvT1_PKT0_PS2_PKS1_: ; @_ZN9rocsparseL25kernel_get_permuted_arrayILj256EdlEEvT1_PKT0_PS2_PKS1_
; %bb.0:
	s_load_b32 s2, s[0:1], 0x2c
	s_bfe_u32 s12, ttmp6, 0x4000c
	s_load_b256 s[4:11], s[0:1], 0x0
	s_add_co_i32 s12, s12, 1
	s_and_b32 s3, ttmp6, 15
	s_wait_xcnt 0x0
	s_mul_i32 s1, ttmp9, s12
	s_getreg_b32 s0, hwreg(HW_REG_IB_STS2, 6, 4)
	s_add_co_i32 s3, s3, s1
	v_mov_b32_e32 v1, 0
	s_wait_kmcnt 0x0
	s_and_b32 s2, s2, 0xffff
	s_cmp_eq_u32 s0, 0
	s_cselect_b32 s0, ttmp9, s3
	s_delay_alu instid0(SALU_CYCLE_1) | instskip(SKIP_1) | instid1(VALU_DEP_1)
	v_mad_u32 v0, s0, s2, v0
	s_mov_b32 s0, exec_lo
	v_cmpx_gt_i64_e64 s[4:5], v[0:1]
	s_cbranch_execz .LBB58_2
; %bb.1:
	v_lshlrev_b64_e32 v[0:1], 3, v[0:1]
	s_delay_alu instid0(VALU_DEP_1)
	v_add_nc_u64_e32 v[2:3], s[10:11], v[0:1]
	v_add_nc_u64_e32 v[0:1], s[8:9], v[0:1]
	global_load_b64 v[2:3], v[2:3], off
	s_wait_loadcnt 0x0
	v_lshl_add_u64 v[2:3], v[2:3], 3, s[6:7]
	global_load_b64 v[2:3], v[2:3], off
	s_wait_loadcnt 0x0
	global_store_b64 v[0:1], v[2:3], off
.LBB58_2:
	s_endpgm
	.section	.rodata,"a",@progbits
	.p2align	6, 0x0
	.amdhsa_kernel _ZN9rocsparseL25kernel_get_permuted_arrayILj256EdlEEvT1_PKT0_PS2_PKS1_
		.amdhsa_group_segment_fixed_size 0
		.amdhsa_private_segment_fixed_size 0
		.amdhsa_kernarg_size 288
		.amdhsa_user_sgpr_count 2
		.amdhsa_user_sgpr_dispatch_ptr 0
		.amdhsa_user_sgpr_queue_ptr 0
		.amdhsa_user_sgpr_kernarg_segment_ptr 1
		.amdhsa_user_sgpr_dispatch_id 0
		.amdhsa_user_sgpr_kernarg_preload_length 0
		.amdhsa_user_sgpr_kernarg_preload_offset 0
		.amdhsa_user_sgpr_private_segment_size 0
		.amdhsa_wavefront_size32 1
		.amdhsa_uses_dynamic_stack 0
		.amdhsa_enable_private_segment 0
		.amdhsa_system_sgpr_workgroup_id_x 1
		.amdhsa_system_sgpr_workgroup_id_y 0
		.amdhsa_system_sgpr_workgroup_id_z 0
		.amdhsa_system_sgpr_workgroup_info 0
		.amdhsa_system_vgpr_workitem_id 0
		.amdhsa_next_free_vgpr 4
		.amdhsa_next_free_sgpr 13
		.amdhsa_named_barrier_count 0
		.amdhsa_reserve_vcc 0
		.amdhsa_float_round_mode_32 0
		.amdhsa_float_round_mode_16_64 0
		.amdhsa_float_denorm_mode_32 3
		.amdhsa_float_denorm_mode_16_64 3
		.amdhsa_fp16_overflow 0
		.amdhsa_memory_ordered 1
		.amdhsa_forward_progress 1
		.amdhsa_inst_pref_size 2
		.amdhsa_round_robin_scheduling 0
		.amdhsa_exception_fp_ieee_invalid_op 0
		.amdhsa_exception_fp_denorm_src 0
		.amdhsa_exception_fp_ieee_div_zero 0
		.amdhsa_exception_fp_ieee_overflow 0
		.amdhsa_exception_fp_ieee_underflow 0
		.amdhsa_exception_fp_ieee_inexact 0
		.amdhsa_exception_int_div_zero 0
	.end_amdhsa_kernel
	.section	.text._ZN9rocsparseL25kernel_get_permuted_arrayILj256EdlEEvT1_PKT0_PS2_PKS1_,"axG",@progbits,_ZN9rocsparseL25kernel_get_permuted_arrayILj256EdlEEvT1_PKT0_PS2_PKS1_,comdat
.Lfunc_end58:
	.size	_ZN9rocsparseL25kernel_get_permuted_arrayILj256EdlEEvT1_PKT0_PS2_PKS1_, .Lfunc_end58-_ZN9rocsparseL25kernel_get_permuted_arrayILj256EdlEEvT1_PKT0_PS2_PKS1_
                                        ; -- End function
	.set _ZN9rocsparseL25kernel_get_permuted_arrayILj256EdlEEvT1_PKT0_PS2_PKS1_.num_vgpr, 4
	.set _ZN9rocsparseL25kernel_get_permuted_arrayILj256EdlEEvT1_PKT0_PS2_PKS1_.num_agpr, 0
	.set _ZN9rocsparseL25kernel_get_permuted_arrayILj256EdlEEvT1_PKT0_PS2_PKS1_.numbered_sgpr, 13
	.set _ZN9rocsparseL25kernel_get_permuted_arrayILj256EdlEEvT1_PKT0_PS2_PKS1_.num_named_barrier, 0
	.set _ZN9rocsparseL25kernel_get_permuted_arrayILj256EdlEEvT1_PKT0_PS2_PKS1_.private_seg_size, 0
	.set _ZN9rocsparseL25kernel_get_permuted_arrayILj256EdlEEvT1_PKT0_PS2_PKS1_.uses_vcc, 0
	.set _ZN9rocsparseL25kernel_get_permuted_arrayILj256EdlEEvT1_PKT0_PS2_PKS1_.uses_flat_scratch, 0
	.set _ZN9rocsparseL25kernel_get_permuted_arrayILj256EdlEEvT1_PKT0_PS2_PKS1_.has_dyn_sized_stack, 0
	.set _ZN9rocsparseL25kernel_get_permuted_arrayILj256EdlEEvT1_PKT0_PS2_PKS1_.has_recursion, 0
	.set _ZN9rocsparseL25kernel_get_permuted_arrayILj256EdlEEvT1_PKT0_PS2_PKS1_.has_indirect_call, 0
	.section	.AMDGPU.csdata,"",@progbits
; Kernel info:
; codeLenInByte = 172
; TotalNumSgprs: 13
; NumVgprs: 4
; ScratchSize: 0
; MemoryBound: 0
; FloatMode: 240
; IeeeMode: 1
; LDSByteSize: 0 bytes/workgroup (compile time only)
; SGPRBlocks: 0
; VGPRBlocks: 0
; NumSGPRsForWavesPerEU: 13
; NumVGPRsForWavesPerEU: 4
; NamedBarCnt: 0
; Occupancy: 16
; WaveLimiterHint : 1
; COMPUTE_PGM_RSRC2:SCRATCH_EN: 0
; COMPUTE_PGM_RSRC2:USER_SGPR: 2
; COMPUTE_PGM_RSRC2:TRAP_HANDLER: 0
; COMPUTE_PGM_RSRC2:TGID_X_EN: 1
; COMPUTE_PGM_RSRC2:TGID_Y_EN: 0
; COMPUTE_PGM_RSRC2:TGID_Z_EN: 0
; COMPUTE_PGM_RSRC2:TIDIG_COMP_CNT: 0
	.section	.text._ZN9rocsparseL25kernel_set_permuted_arrayILj256EdlEEvT1_PT0_PKS2_PKS1_,"axG",@progbits,_ZN9rocsparseL25kernel_set_permuted_arrayILj256EdlEEvT1_PT0_PKS2_PKS1_,comdat
	.globl	_ZN9rocsparseL25kernel_set_permuted_arrayILj256EdlEEvT1_PT0_PKS2_PKS1_ ; -- Begin function _ZN9rocsparseL25kernel_set_permuted_arrayILj256EdlEEvT1_PT0_PKS2_PKS1_
	.p2align	8
	.type	_ZN9rocsparseL25kernel_set_permuted_arrayILj256EdlEEvT1_PT0_PKS2_PKS1_,@function
_ZN9rocsparseL25kernel_set_permuted_arrayILj256EdlEEvT1_PT0_PKS2_PKS1_: ; @_ZN9rocsparseL25kernel_set_permuted_arrayILj256EdlEEvT1_PT0_PKS2_PKS1_
; %bb.0:
	s_load_b32 s2, s[0:1], 0x2c
	s_bfe_u32 s12, ttmp6, 0x4000c
	s_load_b256 s[4:11], s[0:1], 0x0
	s_add_co_i32 s12, s12, 1
	s_and_b32 s3, ttmp6, 15
	s_wait_xcnt 0x0
	s_mul_i32 s1, ttmp9, s12
	s_getreg_b32 s0, hwreg(HW_REG_IB_STS2, 6, 4)
	s_add_co_i32 s3, s3, s1
	v_mov_b32_e32 v1, 0
	s_wait_kmcnt 0x0
	s_and_b32 s2, s2, 0xffff
	s_cmp_eq_u32 s0, 0
	s_cselect_b32 s0, ttmp9, s3
	s_delay_alu instid0(SALU_CYCLE_1) | instskip(SKIP_1) | instid1(VALU_DEP_1)
	v_mad_u32 v0, s0, s2, v0
	s_mov_b32 s0, exec_lo
	v_cmpx_gt_i64_e64 s[4:5], v[0:1]
	s_cbranch_execz .LBB59_2
; %bb.1:
	v_lshlrev_b64_e32 v[0:1], 3, v[0:1]
	s_delay_alu instid0(VALU_DEP_1)
	v_add_nc_u64_e32 v[2:3], s[10:11], v[0:1]
	v_add_nc_u64_e32 v[0:1], s[8:9], v[0:1]
	global_load_b64 v[4:5], v[2:3], off
	global_load_b64 v[6:7], v[0:1], off
	s_wait_loadcnt 0x1
	s_wait_xcnt 0x0
	v_lshl_add_u64 v[0:1], v[4:5], 3, s[6:7]
	s_wait_loadcnt 0x0
	global_store_b64 v[0:1], v[6:7], off
.LBB59_2:
	s_endpgm
	.section	.rodata,"a",@progbits
	.p2align	6, 0x0
	.amdhsa_kernel _ZN9rocsparseL25kernel_set_permuted_arrayILj256EdlEEvT1_PT0_PKS2_PKS1_
		.amdhsa_group_segment_fixed_size 0
		.amdhsa_private_segment_fixed_size 0
		.amdhsa_kernarg_size 288
		.amdhsa_user_sgpr_count 2
		.amdhsa_user_sgpr_dispatch_ptr 0
		.amdhsa_user_sgpr_queue_ptr 0
		.amdhsa_user_sgpr_kernarg_segment_ptr 1
		.amdhsa_user_sgpr_dispatch_id 0
		.amdhsa_user_sgpr_kernarg_preload_length 0
		.amdhsa_user_sgpr_kernarg_preload_offset 0
		.amdhsa_user_sgpr_private_segment_size 0
		.amdhsa_wavefront_size32 1
		.amdhsa_uses_dynamic_stack 0
		.amdhsa_enable_private_segment 0
		.amdhsa_system_sgpr_workgroup_id_x 1
		.amdhsa_system_sgpr_workgroup_id_y 0
		.amdhsa_system_sgpr_workgroup_id_z 0
		.amdhsa_system_sgpr_workgroup_info 0
		.amdhsa_system_vgpr_workitem_id 0
		.amdhsa_next_free_vgpr 8
		.amdhsa_next_free_sgpr 13
		.amdhsa_named_barrier_count 0
		.amdhsa_reserve_vcc 0
		.amdhsa_float_round_mode_32 0
		.amdhsa_float_round_mode_16_64 0
		.amdhsa_float_denorm_mode_32 3
		.amdhsa_float_denorm_mode_16_64 3
		.amdhsa_fp16_overflow 0
		.amdhsa_memory_ordered 1
		.amdhsa_forward_progress 1
		.amdhsa_inst_pref_size 2
		.amdhsa_round_robin_scheduling 0
		.amdhsa_exception_fp_ieee_invalid_op 0
		.amdhsa_exception_fp_denorm_src 0
		.amdhsa_exception_fp_ieee_div_zero 0
		.amdhsa_exception_fp_ieee_overflow 0
		.amdhsa_exception_fp_ieee_underflow 0
		.amdhsa_exception_fp_ieee_inexact 0
		.amdhsa_exception_int_div_zero 0
	.end_amdhsa_kernel
	.section	.text._ZN9rocsparseL25kernel_set_permuted_arrayILj256EdlEEvT1_PT0_PKS2_PKS1_,"axG",@progbits,_ZN9rocsparseL25kernel_set_permuted_arrayILj256EdlEEvT1_PT0_PKS2_PKS1_,comdat
.Lfunc_end59:
	.size	_ZN9rocsparseL25kernel_set_permuted_arrayILj256EdlEEvT1_PT0_PKS2_PKS1_, .Lfunc_end59-_ZN9rocsparseL25kernel_set_permuted_arrayILj256EdlEEvT1_PT0_PKS2_PKS1_
                                        ; -- End function
	.set _ZN9rocsparseL25kernel_set_permuted_arrayILj256EdlEEvT1_PT0_PKS2_PKS1_.num_vgpr, 8
	.set _ZN9rocsparseL25kernel_set_permuted_arrayILj256EdlEEvT1_PT0_PKS2_PKS1_.num_agpr, 0
	.set _ZN9rocsparseL25kernel_set_permuted_arrayILj256EdlEEvT1_PT0_PKS2_PKS1_.numbered_sgpr, 13
	.set _ZN9rocsparseL25kernel_set_permuted_arrayILj256EdlEEvT1_PT0_PKS2_PKS1_.num_named_barrier, 0
	.set _ZN9rocsparseL25kernel_set_permuted_arrayILj256EdlEEvT1_PT0_PKS2_PKS1_.private_seg_size, 0
	.set _ZN9rocsparseL25kernel_set_permuted_arrayILj256EdlEEvT1_PT0_PKS2_PKS1_.uses_vcc, 0
	.set _ZN9rocsparseL25kernel_set_permuted_arrayILj256EdlEEvT1_PT0_PKS2_PKS1_.uses_flat_scratch, 0
	.set _ZN9rocsparseL25kernel_set_permuted_arrayILj256EdlEEvT1_PT0_PKS2_PKS1_.has_dyn_sized_stack, 0
	.set _ZN9rocsparseL25kernel_set_permuted_arrayILj256EdlEEvT1_PT0_PKS2_PKS1_.has_recursion, 0
	.set _ZN9rocsparseL25kernel_set_permuted_arrayILj256EdlEEvT1_PT0_PKS2_PKS1_.has_indirect_call, 0
	.section	.AMDGPU.csdata,"",@progbits
; Kernel info:
; codeLenInByte = 176
; TotalNumSgprs: 13
; NumVgprs: 8
; ScratchSize: 0
; MemoryBound: 0
; FloatMode: 240
; IeeeMode: 1
; LDSByteSize: 0 bytes/workgroup (compile time only)
; SGPRBlocks: 0
; VGPRBlocks: 0
; NumSGPRsForWavesPerEU: 13
; NumVGPRsForWavesPerEU: 8
; NamedBarCnt: 0
; Occupancy: 16
; WaveLimiterHint : 1
; COMPUTE_PGM_RSRC2:SCRATCH_EN: 0
; COMPUTE_PGM_RSRC2:USER_SGPR: 2
; COMPUTE_PGM_RSRC2:TRAP_HANDLER: 0
; COMPUTE_PGM_RSRC2:TGID_X_EN: 1
; COMPUTE_PGM_RSRC2:TGID_Y_EN: 0
; COMPUTE_PGM_RSRC2:TGID_Z_EN: 0
; COMPUTE_PGM_RSRC2:TIDIG_COMP_CNT: 0
	.section	.text._ZN9rocsparseL25kernel_set_identity_arrayILj256E21rocsparse_complex_numIfElEEvT1_PT0_,"axG",@progbits,_ZN9rocsparseL25kernel_set_identity_arrayILj256E21rocsparse_complex_numIfElEEvT1_PT0_,comdat
	.globl	_ZN9rocsparseL25kernel_set_identity_arrayILj256E21rocsparse_complex_numIfElEEvT1_PT0_ ; -- Begin function _ZN9rocsparseL25kernel_set_identity_arrayILj256E21rocsparse_complex_numIfElEEvT1_PT0_
	.p2align	8
	.type	_ZN9rocsparseL25kernel_set_identity_arrayILj256E21rocsparse_complex_numIfElEEvT1_PT0_,@function
_ZN9rocsparseL25kernel_set_identity_arrayILj256E21rocsparse_complex_numIfElEEvT1_PT0_: ; @_ZN9rocsparseL25kernel_set_identity_arrayILj256E21rocsparse_complex_numIfElEEvT1_PT0_
; %bb.0:
	s_clause 0x1
	s_load_b32 s2, s[0:1], 0x1c
	s_load_b128 s[4:7], s[0:1], 0x0
	s_wait_xcnt 0x0
	s_bfe_u32 s0, ttmp6, 0x4000c
	s_and_b32 s1, ttmp6, 15
	s_add_co_i32 s0, s0, 1
	s_getreg_b32 s3, hwreg(HW_REG_IB_STS2, 6, 4)
	s_mul_i32 s0, ttmp9, s0
	v_mov_b32_e32 v1, 0
	s_add_co_i32 s1, s1, s0
	s_wait_kmcnt 0x0
	s_and_b32 s2, s2, 0xffff
	s_cmp_eq_u32 s3, 0
	s_cselect_b32 s0, ttmp9, s1
	s_delay_alu instid0(SALU_CYCLE_1) | instskip(SKIP_1) | instid1(VALU_DEP_1)
	v_mad_u32 v0, s0, s2, v0
	s_mov_b32 s0, exec_lo
	v_cmpx_gt_i64_e64 s[4:5], v[0:1]
	s_cbranch_execz .LBB60_2
; %bb.1:
	v_mov_b64_e32 v[2:3], 0x3f800000
	v_lshl_add_u64 v[0:1], v[0:1], 3, s[6:7]
	global_store_b64 v[0:1], v[2:3], off
.LBB60_2:
	s_endpgm
	.section	.rodata,"a",@progbits
	.p2align	6, 0x0
	.amdhsa_kernel _ZN9rocsparseL25kernel_set_identity_arrayILj256E21rocsparse_complex_numIfElEEvT1_PT0_
		.amdhsa_group_segment_fixed_size 0
		.amdhsa_private_segment_fixed_size 0
		.amdhsa_kernarg_size 272
		.amdhsa_user_sgpr_count 2
		.amdhsa_user_sgpr_dispatch_ptr 0
		.amdhsa_user_sgpr_queue_ptr 0
		.amdhsa_user_sgpr_kernarg_segment_ptr 1
		.amdhsa_user_sgpr_dispatch_id 0
		.amdhsa_user_sgpr_kernarg_preload_length 0
		.amdhsa_user_sgpr_kernarg_preload_offset 0
		.amdhsa_user_sgpr_private_segment_size 0
		.amdhsa_wavefront_size32 1
		.amdhsa_uses_dynamic_stack 0
		.amdhsa_enable_private_segment 0
		.amdhsa_system_sgpr_workgroup_id_x 1
		.amdhsa_system_sgpr_workgroup_id_y 0
		.amdhsa_system_sgpr_workgroup_id_z 0
		.amdhsa_system_sgpr_workgroup_info 0
		.amdhsa_system_vgpr_workitem_id 0
		.amdhsa_next_free_vgpr 4
		.amdhsa_next_free_sgpr 8
		.amdhsa_named_barrier_count 0
		.amdhsa_reserve_vcc 0
		.amdhsa_float_round_mode_32 0
		.amdhsa_float_round_mode_16_64 0
		.amdhsa_float_denorm_mode_32 3
		.amdhsa_float_denorm_mode_16_64 3
		.amdhsa_fp16_overflow 0
		.amdhsa_memory_ordered 1
		.amdhsa_forward_progress 1
		.amdhsa_inst_pref_size 2
		.amdhsa_round_robin_scheduling 0
		.amdhsa_exception_fp_ieee_invalid_op 0
		.amdhsa_exception_fp_denorm_src 0
		.amdhsa_exception_fp_ieee_div_zero 0
		.amdhsa_exception_fp_ieee_overflow 0
		.amdhsa_exception_fp_ieee_underflow 0
		.amdhsa_exception_fp_ieee_inexact 0
		.amdhsa_exception_int_div_zero 0
	.end_amdhsa_kernel
	.section	.text._ZN9rocsparseL25kernel_set_identity_arrayILj256E21rocsparse_complex_numIfElEEvT1_PT0_,"axG",@progbits,_ZN9rocsparseL25kernel_set_identity_arrayILj256E21rocsparse_complex_numIfElEEvT1_PT0_,comdat
.Lfunc_end60:
	.size	_ZN9rocsparseL25kernel_set_identity_arrayILj256E21rocsparse_complex_numIfElEEvT1_PT0_, .Lfunc_end60-_ZN9rocsparseL25kernel_set_identity_arrayILj256E21rocsparse_complex_numIfElEEvT1_PT0_
                                        ; -- End function
	.set _ZN9rocsparseL25kernel_set_identity_arrayILj256E21rocsparse_complex_numIfElEEvT1_PT0_.num_vgpr, 4
	.set _ZN9rocsparseL25kernel_set_identity_arrayILj256E21rocsparse_complex_numIfElEEvT1_PT0_.num_agpr, 0
	.set _ZN9rocsparseL25kernel_set_identity_arrayILj256E21rocsparse_complex_numIfElEEvT1_PT0_.numbered_sgpr, 8
	.set _ZN9rocsparseL25kernel_set_identity_arrayILj256E21rocsparse_complex_numIfElEEvT1_PT0_.num_named_barrier, 0
	.set _ZN9rocsparseL25kernel_set_identity_arrayILj256E21rocsparse_complex_numIfElEEvT1_PT0_.private_seg_size, 0
	.set _ZN9rocsparseL25kernel_set_identity_arrayILj256E21rocsparse_complex_numIfElEEvT1_PT0_.uses_vcc, 0
	.set _ZN9rocsparseL25kernel_set_identity_arrayILj256E21rocsparse_complex_numIfElEEvT1_PT0_.uses_flat_scratch, 0
	.set _ZN9rocsparseL25kernel_set_identity_arrayILj256E21rocsparse_complex_numIfElEEvT1_PT0_.has_dyn_sized_stack, 0
	.set _ZN9rocsparseL25kernel_set_identity_arrayILj256E21rocsparse_complex_numIfElEEvT1_PT0_.has_recursion, 0
	.set _ZN9rocsparseL25kernel_set_identity_arrayILj256E21rocsparse_complex_numIfElEEvT1_PT0_.has_indirect_call, 0
	.section	.AMDGPU.csdata,"",@progbits
; Kernel info:
; codeLenInByte = 136
; TotalNumSgprs: 8
; NumVgprs: 4
; ScratchSize: 0
; MemoryBound: 0
; FloatMode: 240
; IeeeMode: 1
; LDSByteSize: 0 bytes/workgroup (compile time only)
; SGPRBlocks: 0
; VGPRBlocks: 0
; NumSGPRsForWavesPerEU: 8
; NumVGPRsForWavesPerEU: 4
; NamedBarCnt: 0
; Occupancy: 16
; WaveLimiterHint : 0
; COMPUTE_PGM_RSRC2:SCRATCH_EN: 0
; COMPUTE_PGM_RSRC2:USER_SGPR: 2
; COMPUTE_PGM_RSRC2:TRAP_HANDLER: 0
; COMPUTE_PGM_RSRC2:TGID_X_EN: 1
; COMPUTE_PGM_RSRC2:TGID_Y_EN: 0
; COMPUTE_PGM_RSRC2:TGID_Z_EN: 0
; COMPUTE_PGM_RSRC2:TIDIG_COMP_CNT: 0
	.section	.text._ZN9rocsparseL25kernel_get_permuted_arrayILj256E21rocsparse_complex_numIfElEEvT1_PKT0_PS4_PKS3_,"axG",@progbits,_ZN9rocsparseL25kernel_get_permuted_arrayILj256E21rocsparse_complex_numIfElEEvT1_PKT0_PS4_PKS3_,comdat
	.globl	_ZN9rocsparseL25kernel_get_permuted_arrayILj256E21rocsparse_complex_numIfElEEvT1_PKT0_PS4_PKS3_ ; -- Begin function _ZN9rocsparseL25kernel_get_permuted_arrayILj256E21rocsparse_complex_numIfElEEvT1_PKT0_PS4_PKS3_
	.p2align	8
	.type	_ZN9rocsparseL25kernel_get_permuted_arrayILj256E21rocsparse_complex_numIfElEEvT1_PKT0_PS4_PKS3_,@function
_ZN9rocsparseL25kernel_get_permuted_arrayILj256E21rocsparse_complex_numIfElEEvT1_PKT0_PS4_PKS3_: ; @_ZN9rocsparseL25kernel_get_permuted_arrayILj256E21rocsparse_complex_numIfElEEvT1_PKT0_PS4_PKS3_
; %bb.0:
	s_load_b32 s2, s[0:1], 0x2c
	s_bfe_u32 s12, ttmp6, 0x4000c
	s_load_b256 s[4:11], s[0:1], 0x0
	s_add_co_i32 s12, s12, 1
	s_and_b32 s3, ttmp6, 15
	s_wait_xcnt 0x0
	s_mul_i32 s1, ttmp9, s12
	s_getreg_b32 s0, hwreg(HW_REG_IB_STS2, 6, 4)
	s_add_co_i32 s3, s3, s1
	v_mov_b32_e32 v1, 0
	s_wait_kmcnt 0x0
	s_and_b32 s2, s2, 0xffff
	s_cmp_eq_u32 s0, 0
	s_cselect_b32 s0, ttmp9, s3
	s_delay_alu instid0(SALU_CYCLE_1) | instskip(SKIP_1) | instid1(VALU_DEP_1)
	v_mad_u32 v0, s0, s2, v0
	s_mov_b32 s0, exec_lo
	v_cmpx_gt_i64_e64 s[4:5], v[0:1]
	s_cbranch_execz .LBB61_2
; %bb.1:
	v_lshlrev_b64_e32 v[0:1], 3, v[0:1]
	s_delay_alu instid0(VALU_DEP_1)
	v_add_nc_u64_e32 v[2:3], s[10:11], v[0:1]
	v_add_nc_u64_e32 v[0:1], s[8:9], v[0:1]
	global_load_b64 v[2:3], v[2:3], off
	s_wait_loadcnt 0x0
	v_lshl_add_u64 v[2:3], v[2:3], 3, s[6:7]
	global_load_b64 v[2:3], v[2:3], off
	s_wait_loadcnt 0x0
	global_store_b64 v[0:1], v[2:3], off
.LBB61_2:
	s_endpgm
	.section	.rodata,"a",@progbits
	.p2align	6, 0x0
	.amdhsa_kernel _ZN9rocsparseL25kernel_get_permuted_arrayILj256E21rocsparse_complex_numIfElEEvT1_PKT0_PS4_PKS3_
		.amdhsa_group_segment_fixed_size 0
		.amdhsa_private_segment_fixed_size 0
		.amdhsa_kernarg_size 288
		.amdhsa_user_sgpr_count 2
		.amdhsa_user_sgpr_dispatch_ptr 0
		.amdhsa_user_sgpr_queue_ptr 0
		.amdhsa_user_sgpr_kernarg_segment_ptr 1
		.amdhsa_user_sgpr_dispatch_id 0
		.amdhsa_user_sgpr_kernarg_preload_length 0
		.amdhsa_user_sgpr_kernarg_preload_offset 0
		.amdhsa_user_sgpr_private_segment_size 0
		.amdhsa_wavefront_size32 1
		.amdhsa_uses_dynamic_stack 0
		.amdhsa_enable_private_segment 0
		.amdhsa_system_sgpr_workgroup_id_x 1
		.amdhsa_system_sgpr_workgroup_id_y 0
		.amdhsa_system_sgpr_workgroup_id_z 0
		.amdhsa_system_sgpr_workgroup_info 0
		.amdhsa_system_vgpr_workitem_id 0
		.amdhsa_next_free_vgpr 4
		.amdhsa_next_free_sgpr 13
		.amdhsa_named_barrier_count 0
		.amdhsa_reserve_vcc 0
		.amdhsa_float_round_mode_32 0
		.amdhsa_float_round_mode_16_64 0
		.amdhsa_float_denorm_mode_32 3
		.amdhsa_float_denorm_mode_16_64 3
		.amdhsa_fp16_overflow 0
		.amdhsa_memory_ordered 1
		.amdhsa_forward_progress 1
		.amdhsa_inst_pref_size 2
		.amdhsa_round_robin_scheduling 0
		.amdhsa_exception_fp_ieee_invalid_op 0
		.amdhsa_exception_fp_denorm_src 0
		.amdhsa_exception_fp_ieee_div_zero 0
		.amdhsa_exception_fp_ieee_overflow 0
		.amdhsa_exception_fp_ieee_underflow 0
		.amdhsa_exception_fp_ieee_inexact 0
		.amdhsa_exception_int_div_zero 0
	.end_amdhsa_kernel
	.section	.text._ZN9rocsparseL25kernel_get_permuted_arrayILj256E21rocsparse_complex_numIfElEEvT1_PKT0_PS4_PKS3_,"axG",@progbits,_ZN9rocsparseL25kernel_get_permuted_arrayILj256E21rocsparse_complex_numIfElEEvT1_PKT0_PS4_PKS3_,comdat
.Lfunc_end61:
	.size	_ZN9rocsparseL25kernel_get_permuted_arrayILj256E21rocsparse_complex_numIfElEEvT1_PKT0_PS4_PKS3_, .Lfunc_end61-_ZN9rocsparseL25kernel_get_permuted_arrayILj256E21rocsparse_complex_numIfElEEvT1_PKT0_PS4_PKS3_
                                        ; -- End function
	.set _ZN9rocsparseL25kernel_get_permuted_arrayILj256E21rocsparse_complex_numIfElEEvT1_PKT0_PS4_PKS3_.num_vgpr, 4
	.set _ZN9rocsparseL25kernel_get_permuted_arrayILj256E21rocsparse_complex_numIfElEEvT1_PKT0_PS4_PKS3_.num_agpr, 0
	.set _ZN9rocsparseL25kernel_get_permuted_arrayILj256E21rocsparse_complex_numIfElEEvT1_PKT0_PS4_PKS3_.numbered_sgpr, 13
	.set _ZN9rocsparseL25kernel_get_permuted_arrayILj256E21rocsparse_complex_numIfElEEvT1_PKT0_PS4_PKS3_.num_named_barrier, 0
	.set _ZN9rocsparseL25kernel_get_permuted_arrayILj256E21rocsparse_complex_numIfElEEvT1_PKT0_PS4_PKS3_.private_seg_size, 0
	.set _ZN9rocsparseL25kernel_get_permuted_arrayILj256E21rocsparse_complex_numIfElEEvT1_PKT0_PS4_PKS3_.uses_vcc, 0
	.set _ZN9rocsparseL25kernel_get_permuted_arrayILj256E21rocsparse_complex_numIfElEEvT1_PKT0_PS4_PKS3_.uses_flat_scratch, 0
	.set _ZN9rocsparseL25kernel_get_permuted_arrayILj256E21rocsparse_complex_numIfElEEvT1_PKT0_PS4_PKS3_.has_dyn_sized_stack, 0
	.set _ZN9rocsparseL25kernel_get_permuted_arrayILj256E21rocsparse_complex_numIfElEEvT1_PKT0_PS4_PKS3_.has_recursion, 0
	.set _ZN9rocsparseL25kernel_get_permuted_arrayILj256E21rocsparse_complex_numIfElEEvT1_PKT0_PS4_PKS3_.has_indirect_call, 0
	.section	.AMDGPU.csdata,"",@progbits
; Kernel info:
; codeLenInByte = 172
; TotalNumSgprs: 13
; NumVgprs: 4
; ScratchSize: 0
; MemoryBound: 0
; FloatMode: 240
; IeeeMode: 1
; LDSByteSize: 0 bytes/workgroup (compile time only)
; SGPRBlocks: 0
; VGPRBlocks: 0
; NumSGPRsForWavesPerEU: 13
; NumVGPRsForWavesPerEU: 4
; NamedBarCnt: 0
; Occupancy: 16
; WaveLimiterHint : 1
; COMPUTE_PGM_RSRC2:SCRATCH_EN: 0
; COMPUTE_PGM_RSRC2:USER_SGPR: 2
; COMPUTE_PGM_RSRC2:TRAP_HANDLER: 0
; COMPUTE_PGM_RSRC2:TGID_X_EN: 1
; COMPUTE_PGM_RSRC2:TGID_Y_EN: 0
; COMPUTE_PGM_RSRC2:TGID_Z_EN: 0
; COMPUTE_PGM_RSRC2:TIDIG_COMP_CNT: 0
	.section	.text._ZN9rocsparseL25kernel_set_permuted_arrayILj256E21rocsparse_complex_numIfElEEvT1_PT0_PKS4_PKS3_,"axG",@progbits,_ZN9rocsparseL25kernel_set_permuted_arrayILj256E21rocsparse_complex_numIfElEEvT1_PT0_PKS4_PKS3_,comdat
	.globl	_ZN9rocsparseL25kernel_set_permuted_arrayILj256E21rocsparse_complex_numIfElEEvT1_PT0_PKS4_PKS3_ ; -- Begin function _ZN9rocsparseL25kernel_set_permuted_arrayILj256E21rocsparse_complex_numIfElEEvT1_PT0_PKS4_PKS3_
	.p2align	8
	.type	_ZN9rocsparseL25kernel_set_permuted_arrayILj256E21rocsparse_complex_numIfElEEvT1_PT0_PKS4_PKS3_,@function
_ZN9rocsparseL25kernel_set_permuted_arrayILj256E21rocsparse_complex_numIfElEEvT1_PT0_PKS4_PKS3_: ; @_ZN9rocsparseL25kernel_set_permuted_arrayILj256E21rocsparse_complex_numIfElEEvT1_PT0_PKS4_PKS3_
; %bb.0:
	s_load_b32 s2, s[0:1], 0x2c
	s_bfe_u32 s12, ttmp6, 0x4000c
	s_load_b256 s[4:11], s[0:1], 0x0
	s_add_co_i32 s12, s12, 1
	s_and_b32 s3, ttmp6, 15
	s_wait_xcnt 0x0
	s_mul_i32 s1, ttmp9, s12
	s_getreg_b32 s0, hwreg(HW_REG_IB_STS2, 6, 4)
	s_add_co_i32 s3, s3, s1
	v_mov_b32_e32 v1, 0
	s_wait_kmcnt 0x0
	s_and_b32 s2, s2, 0xffff
	s_cmp_eq_u32 s0, 0
	s_cselect_b32 s0, ttmp9, s3
	s_delay_alu instid0(SALU_CYCLE_1) | instskip(SKIP_1) | instid1(VALU_DEP_1)
	v_mad_u32 v0, s0, s2, v0
	s_mov_b32 s0, exec_lo
	v_cmpx_gt_i64_e64 s[4:5], v[0:1]
	s_cbranch_execz .LBB62_2
; %bb.1:
	v_lshlrev_b64_e32 v[0:1], 3, v[0:1]
	s_delay_alu instid0(VALU_DEP_1)
	v_add_nc_u64_e32 v[2:3], s[10:11], v[0:1]
	v_add_nc_u64_e32 v[0:1], s[8:9], v[0:1]
	global_load_b64 v[4:5], v[2:3], off
	global_load_b64 v[6:7], v[0:1], off
	s_wait_loadcnt 0x1
	s_wait_xcnt 0x0
	v_lshl_add_u64 v[0:1], v[4:5], 3, s[6:7]
	s_wait_loadcnt 0x0
	global_store_b64 v[0:1], v[6:7], off
.LBB62_2:
	s_endpgm
	.section	.rodata,"a",@progbits
	.p2align	6, 0x0
	.amdhsa_kernel _ZN9rocsparseL25kernel_set_permuted_arrayILj256E21rocsparse_complex_numIfElEEvT1_PT0_PKS4_PKS3_
		.amdhsa_group_segment_fixed_size 0
		.amdhsa_private_segment_fixed_size 0
		.amdhsa_kernarg_size 288
		.amdhsa_user_sgpr_count 2
		.amdhsa_user_sgpr_dispatch_ptr 0
		.amdhsa_user_sgpr_queue_ptr 0
		.amdhsa_user_sgpr_kernarg_segment_ptr 1
		.amdhsa_user_sgpr_dispatch_id 0
		.amdhsa_user_sgpr_kernarg_preload_length 0
		.amdhsa_user_sgpr_kernarg_preload_offset 0
		.amdhsa_user_sgpr_private_segment_size 0
		.amdhsa_wavefront_size32 1
		.amdhsa_uses_dynamic_stack 0
		.amdhsa_enable_private_segment 0
		.amdhsa_system_sgpr_workgroup_id_x 1
		.amdhsa_system_sgpr_workgroup_id_y 0
		.amdhsa_system_sgpr_workgroup_id_z 0
		.amdhsa_system_sgpr_workgroup_info 0
		.amdhsa_system_vgpr_workitem_id 0
		.amdhsa_next_free_vgpr 8
		.amdhsa_next_free_sgpr 13
		.amdhsa_named_barrier_count 0
		.amdhsa_reserve_vcc 0
		.amdhsa_float_round_mode_32 0
		.amdhsa_float_round_mode_16_64 0
		.amdhsa_float_denorm_mode_32 3
		.amdhsa_float_denorm_mode_16_64 3
		.amdhsa_fp16_overflow 0
		.amdhsa_memory_ordered 1
		.amdhsa_forward_progress 1
		.amdhsa_inst_pref_size 2
		.amdhsa_round_robin_scheduling 0
		.amdhsa_exception_fp_ieee_invalid_op 0
		.amdhsa_exception_fp_denorm_src 0
		.amdhsa_exception_fp_ieee_div_zero 0
		.amdhsa_exception_fp_ieee_overflow 0
		.amdhsa_exception_fp_ieee_underflow 0
		.amdhsa_exception_fp_ieee_inexact 0
		.amdhsa_exception_int_div_zero 0
	.end_amdhsa_kernel
	.section	.text._ZN9rocsparseL25kernel_set_permuted_arrayILj256E21rocsparse_complex_numIfElEEvT1_PT0_PKS4_PKS3_,"axG",@progbits,_ZN9rocsparseL25kernel_set_permuted_arrayILj256E21rocsparse_complex_numIfElEEvT1_PT0_PKS4_PKS3_,comdat
.Lfunc_end62:
	.size	_ZN9rocsparseL25kernel_set_permuted_arrayILj256E21rocsparse_complex_numIfElEEvT1_PT0_PKS4_PKS3_, .Lfunc_end62-_ZN9rocsparseL25kernel_set_permuted_arrayILj256E21rocsparse_complex_numIfElEEvT1_PT0_PKS4_PKS3_
                                        ; -- End function
	.set _ZN9rocsparseL25kernel_set_permuted_arrayILj256E21rocsparse_complex_numIfElEEvT1_PT0_PKS4_PKS3_.num_vgpr, 8
	.set _ZN9rocsparseL25kernel_set_permuted_arrayILj256E21rocsparse_complex_numIfElEEvT1_PT0_PKS4_PKS3_.num_agpr, 0
	.set _ZN9rocsparseL25kernel_set_permuted_arrayILj256E21rocsparse_complex_numIfElEEvT1_PT0_PKS4_PKS3_.numbered_sgpr, 13
	.set _ZN9rocsparseL25kernel_set_permuted_arrayILj256E21rocsparse_complex_numIfElEEvT1_PT0_PKS4_PKS3_.num_named_barrier, 0
	.set _ZN9rocsparseL25kernel_set_permuted_arrayILj256E21rocsparse_complex_numIfElEEvT1_PT0_PKS4_PKS3_.private_seg_size, 0
	.set _ZN9rocsparseL25kernel_set_permuted_arrayILj256E21rocsparse_complex_numIfElEEvT1_PT0_PKS4_PKS3_.uses_vcc, 0
	.set _ZN9rocsparseL25kernel_set_permuted_arrayILj256E21rocsparse_complex_numIfElEEvT1_PT0_PKS4_PKS3_.uses_flat_scratch, 0
	.set _ZN9rocsparseL25kernel_set_permuted_arrayILj256E21rocsparse_complex_numIfElEEvT1_PT0_PKS4_PKS3_.has_dyn_sized_stack, 0
	.set _ZN9rocsparseL25kernel_set_permuted_arrayILj256E21rocsparse_complex_numIfElEEvT1_PT0_PKS4_PKS3_.has_recursion, 0
	.set _ZN9rocsparseL25kernel_set_permuted_arrayILj256E21rocsparse_complex_numIfElEEvT1_PT0_PKS4_PKS3_.has_indirect_call, 0
	.section	.AMDGPU.csdata,"",@progbits
; Kernel info:
; codeLenInByte = 176
; TotalNumSgprs: 13
; NumVgprs: 8
; ScratchSize: 0
; MemoryBound: 0
; FloatMode: 240
; IeeeMode: 1
; LDSByteSize: 0 bytes/workgroup (compile time only)
; SGPRBlocks: 0
; VGPRBlocks: 0
; NumSGPRsForWavesPerEU: 13
; NumVGPRsForWavesPerEU: 8
; NamedBarCnt: 0
; Occupancy: 16
; WaveLimiterHint : 1
; COMPUTE_PGM_RSRC2:SCRATCH_EN: 0
; COMPUTE_PGM_RSRC2:USER_SGPR: 2
; COMPUTE_PGM_RSRC2:TRAP_HANDLER: 0
; COMPUTE_PGM_RSRC2:TGID_X_EN: 1
; COMPUTE_PGM_RSRC2:TGID_Y_EN: 0
; COMPUTE_PGM_RSRC2:TGID_Z_EN: 0
; COMPUTE_PGM_RSRC2:TIDIG_COMP_CNT: 0
	.section	.text._ZN9rocsparseL25kernel_set_identity_arrayILj256E21rocsparse_complex_numIdElEEvT1_PT0_,"axG",@progbits,_ZN9rocsparseL25kernel_set_identity_arrayILj256E21rocsparse_complex_numIdElEEvT1_PT0_,comdat
	.globl	_ZN9rocsparseL25kernel_set_identity_arrayILj256E21rocsparse_complex_numIdElEEvT1_PT0_ ; -- Begin function _ZN9rocsparseL25kernel_set_identity_arrayILj256E21rocsparse_complex_numIdElEEvT1_PT0_
	.p2align	8
	.type	_ZN9rocsparseL25kernel_set_identity_arrayILj256E21rocsparse_complex_numIdElEEvT1_PT0_,@function
_ZN9rocsparseL25kernel_set_identity_arrayILj256E21rocsparse_complex_numIdElEEvT1_PT0_: ; @_ZN9rocsparseL25kernel_set_identity_arrayILj256E21rocsparse_complex_numIdElEEvT1_PT0_
; %bb.0:
	s_clause 0x1
	s_load_b32 s2, s[0:1], 0x1c
	s_load_b128 s[4:7], s[0:1], 0x0
	s_wait_xcnt 0x0
	s_bfe_u32 s0, ttmp6, 0x4000c
	s_and_b32 s1, ttmp6, 15
	s_add_co_i32 s0, s0, 1
	s_getreg_b32 s3, hwreg(HW_REG_IB_STS2, 6, 4)
	s_mul_i32 s0, ttmp9, s0
	v_mov_b32_e32 v3, 0
	s_add_co_i32 s1, s1, s0
	s_wait_kmcnt 0x0
	s_and_b32 s2, s2, 0xffff
	s_cmp_eq_u32 s3, 0
	s_cselect_b32 s0, ttmp9, s1
	s_delay_alu instid0(SALU_CYCLE_1) | instskip(SKIP_1) | instid1(VALU_DEP_1)
	v_mad_u32 v2, s0, s2, v0
	s_mov_b32 s0, exec_lo
	v_cmpx_gt_i64_e64 s[4:5], v[2:3]
	s_cbranch_execz .LBB63_2
; %bb.1:
	v_lshl_add_u64 v[4:5], v[2:3], 4, s[6:7]
	v_dual_mov_b32 v1, 0x3ff00000 :: v_dual_mov_b32 v0, v3
	v_mov_b32_e32 v2, v3
	global_store_b128 v[4:5], v[0:3], off
.LBB63_2:
	s_endpgm
	.section	.rodata,"a",@progbits
	.p2align	6, 0x0
	.amdhsa_kernel _ZN9rocsparseL25kernel_set_identity_arrayILj256E21rocsparse_complex_numIdElEEvT1_PT0_
		.amdhsa_group_segment_fixed_size 0
		.amdhsa_private_segment_fixed_size 0
		.amdhsa_kernarg_size 272
		.amdhsa_user_sgpr_count 2
		.amdhsa_user_sgpr_dispatch_ptr 0
		.amdhsa_user_sgpr_queue_ptr 0
		.amdhsa_user_sgpr_kernarg_segment_ptr 1
		.amdhsa_user_sgpr_dispatch_id 0
		.amdhsa_user_sgpr_kernarg_preload_length 0
		.amdhsa_user_sgpr_kernarg_preload_offset 0
		.amdhsa_user_sgpr_private_segment_size 0
		.amdhsa_wavefront_size32 1
		.amdhsa_uses_dynamic_stack 0
		.amdhsa_enable_private_segment 0
		.amdhsa_system_sgpr_workgroup_id_x 1
		.amdhsa_system_sgpr_workgroup_id_y 0
		.amdhsa_system_sgpr_workgroup_id_z 0
		.amdhsa_system_sgpr_workgroup_info 0
		.amdhsa_system_vgpr_workitem_id 0
		.amdhsa_next_free_vgpr 6
		.amdhsa_next_free_sgpr 8
		.amdhsa_named_barrier_count 0
		.amdhsa_reserve_vcc 0
		.amdhsa_float_round_mode_32 0
		.amdhsa_float_round_mode_16_64 0
		.amdhsa_float_denorm_mode_32 3
		.amdhsa_float_denorm_mode_16_64 3
		.amdhsa_fp16_overflow 0
		.amdhsa_memory_ordered 1
		.amdhsa_forward_progress 1
		.amdhsa_inst_pref_size 2
		.amdhsa_round_robin_scheduling 0
		.amdhsa_exception_fp_ieee_invalid_op 0
		.amdhsa_exception_fp_denorm_src 0
		.amdhsa_exception_fp_ieee_div_zero 0
		.amdhsa_exception_fp_ieee_overflow 0
		.amdhsa_exception_fp_ieee_underflow 0
		.amdhsa_exception_fp_ieee_inexact 0
		.amdhsa_exception_int_div_zero 0
	.end_amdhsa_kernel
	.section	.text._ZN9rocsparseL25kernel_set_identity_arrayILj256E21rocsparse_complex_numIdElEEvT1_PT0_,"axG",@progbits,_ZN9rocsparseL25kernel_set_identity_arrayILj256E21rocsparse_complex_numIdElEEvT1_PT0_,comdat
.Lfunc_end63:
	.size	_ZN9rocsparseL25kernel_set_identity_arrayILj256E21rocsparse_complex_numIdElEEvT1_PT0_, .Lfunc_end63-_ZN9rocsparseL25kernel_set_identity_arrayILj256E21rocsparse_complex_numIdElEEvT1_PT0_
                                        ; -- End function
	.set _ZN9rocsparseL25kernel_set_identity_arrayILj256E21rocsparse_complex_numIdElEEvT1_PT0_.num_vgpr, 6
	.set _ZN9rocsparseL25kernel_set_identity_arrayILj256E21rocsparse_complex_numIdElEEvT1_PT0_.num_agpr, 0
	.set _ZN9rocsparseL25kernel_set_identity_arrayILj256E21rocsparse_complex_numIdElEEvT1_PT0_.numbered_sgpr, 8
	.set _ZN9rocsparseL25kernel_set_identity_arrayILj256E21rocsparse_complex_numIdElEEvT1_PT0_.num_named_barrier, 0
	.set _ZN9rocsparseL25kernel_set_identity_arrayILj256E21rocsparse_complex_numIdElEEvT1_PT0_.private_seg_size, 0
	.set _ZN9rocsparseL25kernel_set_identity_arrayILj256E21rocsparse_complex_numIdElEEvT1_PT0_.uses_vcc, 0
	.set _ZN9rocsparseL25kernel_set_identity_arrayILj256E21rocsparse_complex_numIdElEEvT1_PT0_.uses_flat_scratch, 0
	.set _ZN9rocsparseL25kernel_set_identity_arrayILj256E21rocsparse_complex_numIdElEEvT1_PT0_.has_dyn_sized_stack, 0
	.set _ZN9rocsparseL25kernel_set_identity_arrayILj256E21rocsparse_complex_numIdElEEvT1_PT0_.has_recursion, 0
	.set _ZN9rocsparseL25kernel_set_identity_arrayILj256E21rocsparse_complex_numIdElEEvT1_PT0_.has_indirect_call, 0
	.section	.AMDGPU.csdata,"",@progbits
; Kernel info:
; codeLenInByte = 144
; TotalNumSgprs: 8
; NumVgprs: 6
; ScratchSize: 0
; MemoryBound: 0
; FloatMode: 240
; IeeeMode: 1
; LDSByteSize: 0 bytes/workgroup (compile time only)
; SGPRBlocks: 0
; VGPRBlocks: 0
; NumSGPRsForWavesPerEU: 8
; NumVGPRsForWavesPerEU: 6
; NamedBarCnt: 0
; Occupancy: 16
; WaveLimiterHint : 0
; COMPUTE_PGM_RSRC2:SCRATCH_EN: 0
; COMPUTE_PGM_RSRC2:USER_SGPR: 2
; COMPUTE_PGM_RSRC2:TRAP_HANDLER: 0
; COMPUTE_PGM_RSRC2:TGID_X_EN: 1
; COMPUTE_PGM_RSRC2:TGID_Y_EN: 0
; COMPUTE_PGM_RSRC2:TGID_Z_EN: 0
; COMPUTE_PGM_RSRC2:TIDIG_COMP_CNT: 0
	.section	.text._ZN9rocsparseL25kernel_get_permuted_arrayILj256E21rocsparse_complex_numIdElEEvT1_PKT0_PS4_PKS3_,"axG",@progbits,_ZN9rocsparseL25kernel_get_permuted_arrayILj256E21rocsparse_complex_numIdElEEvT1_PKT0_PS4_PKS3_,comdat
	.globl	_ZN9rocsparseL25kernel_get_permuted_arrayILj256E21rocsparse_complex_numIdElEEvT1_PKT0_PS4_PKS3_ ; -- Begin function _ZN9rocsparseL25kernel_get_permuted_arrayILj256E21rocsparse_complex_numIdElEEvT1_PKT0_PS4_PKS3_
	.p2align	8
	.type	_ZN9rocsparseL25kernel_get_permuted_arrayILj256E21rocsparse_complex_numIdElEEvT1_PKT0_PS4_PKS3_,@function
_ZN9rocsparseL25kernel_get_permuted_arrayILj256E21rocsparse_complex_numIdElEEvT1_PKT0_PS4_PKS3_: ; @_ZN9rocsparseL25kernel_get_permuted_arrayILj256E21rocsparse_complex_numIdElEEvT1_PKT0_PS4_PKS3_
; %bb.0:
	s_load_b32 s2, s[0:1], 0x2c
	s_bfe_u32 s12, ttmp6, 0x4000c
	s_load_b256 s[4:11], s[0:1], 0x0
	s_add_co_i32 s12, s12, 1
	s_and_b32 s3, ttmp6, 15
	s_wait_xcnt 0x0
	s_mul_i32 s1, ttmp9, s12
	s_getreg_b32 s0, hwreg(HW_REG_IB_STS2, 6, 4)
	s_add_co_i32 s3, s3, s1
	v_mov_b32_e32 v1, 0
	s_wait_kmcnt 0x0
	s_and_b32 s2, s2, 0xffff
	s_cmp_eq_u32 s0, 0
	s_cselect_b32 s0, ttmp9, s3
	s_delay_alu instid0(SALU_CYCLE_1) | instskip(SKIP_1) | instid1(VALU_DEP_1)
	v_mad_u32 v0, s0, s2, v0
	s_mov_b32 s0, exec_lo
	v_cmpx_gt_i64_e64 s[4:5], v[0:1]
	s_cbranch_execz .LBB64_2
; %bb.1:
	v_lshl_add_u64 v[2:3], v[0:1], 3, s[10:11]
	v_lshl_add_u64 v[0:1], v[0:1], 4, s[8:9]
	global_load_b64 v[2:3], v[2:3], off
	s_wait_loadcnt 0x0
	v_lshl_add_u64 v[2:3], v[2:3], 4, s[6:7]
	global_load_b128 v[2:5], v[2:3], off
	s_wait_loadcnt 0x0
	global_store_b128 v[0:1], v[2:5], off
.LBB64_2:
	s_endpgm
	.section	.rodata,"a",@progbits
	.p2align	6, 0x0
	.amdhsa_kernel _ZN9rocsparseL25kernel_get_permuted_arrayILj256E21rocsparse_complex_numIdElEEvT1_PKT0_PS4_PKS3_
		.amdhsa_group_segment_fixed_size 0
		.amdhsa_private_segment_fixed_size 0
		.amdhsa_kernarg_size 288
		.amdhsa_user_sgpr_count 2
		.amdhsa_user_sgpr_dispatch_ptr 0
		.amdhsa_user_sgpr_queue_ptr 0
		.amdhsa_user_sgpr_kernarg_segment_ptr 1
		.amdhsa_user_sgpr_dispatch_id 0
		.amdhsa_user_sgpr_kernarg_preload_length 0
		.amdhsa_user_sgpr_kernarg_preload_offset 0
		.amdhsa_user_sgpr_private_segment_size 0
		.amdhsa_wavefront_size32 1
		.amdhsa_uses_dynamic_stack 0
		.amdhsa_enable_private_segment 0
		.amdhsa_system_sgpr_workgroup_id_x 1
		.amdhsa_system_sgpr_workgroup_id_y 0
		.amdhsa_system_sgpr_workgroup_id_z 0
		.amdhsa_system_sgpr_workgroup_info 0
		.amdhsa_system_vgpr_workitem_id 0
		.amdhsa_next_free_vgpr 6
		.amdhsa_next_free_sgpr 13
		.amdhsa_named_barrier_count 0
		.amdhsa_reserve_vcc 0
		.amdhsa_float_round_mode_32 0
		.amdhsa_float_round_mode_16_64 0
		.amdhsa_float_denorm_mode_32 3
		.amdhsa_float_denorm_mode_16_64 3
		.amdhsa_fp16_overflow 0
		.amdhsa_memory_ordered 1
		.amdhsa_forward_progress 1
		.amdhsa_inst_pref_size 2
		.amdhsa_round_robin_scheduling 0
		.amdhsa_exception_fp_ieee_invalid_op 0
		.amdhsa_exception_fp_denorm_src 0
		.amdhsa_exception_fp_ieee_div_zero 0
		.amdhsa_exception_fp_ieee_overflow 0
		.amdhsa_exception_fp_ieee_underflow 0
		.amdhsa_exception_fp_ieee_inexact 0
		.amdhsa_exception_int_div_zero 0
	.end_amdhsa_kernel
	.section	.text._ZN9rocsparseL25kernel_get_permuted_arrayILj256E21rocsparse_complex_numIdElEEvT1_PKT0_PS4_PKS3_,"axG",@progbits,_ZN9rocsparseL25kernel_get_permuted_arrayILj256E21rocsparse_complex_numIdElEEvT1_PKT0_PS4_PKS3_,comdat
.Lfunc_end64:
	.size	_ZN9rocsparseL25kernel_get_permuted_arrayILj256E21rocsparse_complex_numIdElEEvT1_PKT0_PS4_PKS3_, .Lfunc_end64-_ZN9rocsparseL25kernel_get_permuted_arrayILj256E21rocsparse_complex_numIdElEEvT1_PKT0_PS4_PKS3_
                                        ; -- End function
	.set _ZN9rocsparseL25kernel_get_permuted_arrayILj256E21rocsparse_complex_numIdElEEvT1_PKT0_PS4_PKS3_.num_vgpr, 6
	.set _ZN9rocsparseL25kernel_get_permuted_arrayILj256E21rocsparse_complex_numIdElEEvT1_PKT0_PS4_PKS3_.num_agpr, 0
	.set _ZN9rocsparseL25kernel_get_permuted_arrayILj256E21rocsparse_complex_numIdElEEvT1_PKT0_PS4_PKS3_.numbered_sgpr, 13
	.set _ZN9rocsparseL25kernel_get_permuted_arrayILj256E21rocsparse_complex_numIdElEEvT1_PKT0_PS4_PKS3_.num_named_barrier, 0
	.set _ZN9rocsparseL25kernel_get_permuted_arrayILj256E21rocsparse_complex_numIdElEEvT1_PKT0_PS4_PKS3_.private_seg_size, 0
	.set _ZN9rocsparseL25kernel_get_permuted_arrayILj256E21rocsparse_complex_numIdElEEvT1_PKT0_PS4_PKS3_.uses_vcc, 0
	.set _ZN9rocsparseL25kernel_get_permuted_arrayILj256E21rocsparse_complex_numIdElEEvT1_PKT0_PS4_PKS3_.uses_flat_scratch, 0
	.set _ZN9rocsparseL25kernel_get_permuted_arrayILj256E21rocsparse_complex_numIdElEEvT1_PKT0_PS4_PKS3_.has_dyn_sized_stack, 0
	.set _ZN9rocsparseL25kernel_get_permuted_arrayILj256E21rocsparse_complex_numIdElEEvT1_PKT0_PS4_PKS3_.has_recursion, 0
	.set _ZN9rocsparseL25kernel_get_permuted_arrayILj256E21rocsparse_complex_numIdElEEvT1_PKT0_PS4_PKS3_.has_indirect_call, 0
	.section	.AMDGPU.csdata,"",@progbits
; Kernel info:
; codeLenInByte = 172
; TotalNumSgprs: 13
; NumVgprs: 6
; ScratchSize: 0
; MemoryBound: 0
; FloatMode: 240
; IeeeMode: 1
; LDSByteSize: 0 bytes/workgroup (compile time only)
; SGPRBlocks: 0
; VGPRBlocks: 0
; NumSGPRsForWavesPerEU: 13
; NumVGPRsForWavesPerEU: 6
; NamedBarCnt: 0
; Occupancy: 16
; WaveLimiterHint : 0
; COMPUTE_PGM_RSRC2:SCRATCH_EN: 0
; COMPUTE_PGM_RSRC2:USER_SGPR: 2
; COMPUTE_PGM_RSRC2:TRAP_HANDLER: 0
; COMPUTE_PGM_RSRC2:TGID_X_EN: 1
; COMPUTE_PGM_RSRC2:TGID_Y_EN: 0
; COMPUTE_PGM_RSRC2:TGID_Z_EN: 0
; COMPUTE_PGM_RSRC2:TIDIG_COMP_CNT: 0
	.section	.text._ZN9rocsparseL25kernel_set_permuted_arrayILj256E21rocsparse_complex_numIdElEEvT1_PT0_PKS4_PKS3_,"axG",@progbits,_ZN9rocsparseL25kernel_set_permuted_arrayILj256E21rocsparse_complex_numIdElEEvT1_PT0_PKS4_PKS3_,comdat
	.globl	_ZN9rocsparseL25kernel_set_permuted_arrayILj256E21rocsparse_complex_numIdElEEvT1_PT0_PKS4_PKS3_ ; -- Begin function _ZN9rocsparseL25kernel_set_permuted_arrayILj256E21rocsparse_complex_numIdElEEvT1_PT0_PKS4_PKS3_
	.p2align	8
	.type	_ZN9rocsparseL25kernel_set_permuted_arrayILj256E21rocsparse_complex_numIdElEEvT1_PT0_PKS4_PKS3_,@function
_ZN9rocsparseL25kernel_set_permuted_arrayILj256E21rocsparse_complex_numIdElEEvT1_PT0_PKS4_PKS3_: ; @_ZN9rocsparseL25kernel_set_permuted_arrayILj256E21rocsparse_complex_numIdElEEvT1_PT0_PKS4_PKS3_
; %bb.0:
	s_load_b32 s2, s[0:1], 0x2c
	s_bfe_u32 s12, ttmp6, 0x4000c
	s_load_b256 s[4:11], s[0:1], 0x0
	s_add_co_i32 s12, s12, 1
	s_and_b32 s3, ttmp6, 15
	s_wait_xcnt 0x0
	s_mul_i32 s1, ttmp9, s12
	s_getreg_b32 s0, hwreg(HW_REG_IB_STS2, 6, 4)
	s_add_co_i32 s3, s3, s1
	v_mov_b32_e32 v1, 0
	s_wait_kmcnt 0x0
	s_and_b32 s2, s2, 0xffff
	s_cmp_eq_u32 s0, 0
	s_cselect_b32 s0, ttmp9, s3
	s_delay_alu instid0(SALU_CYCLE_1) | instskip(SKIP_1) | instid1(VALU_DEP_1)
	v_mad_u32 v0, s0, s2, v0
	s_mov_b32 s0, exec_lo
	v_cmpx_gt_i64_e64 s[4:5], v[0:1]
	s_cbranch_execz .LBB65_2
; %bb.1:
	v_lshl_add_u64 v[4:5], v[0:1], 3, s[10:11]
	v_lshl_add_u64 v[6:7], v[0:1], 4, s[8:9]
	global_load_b64 v[8:9], v[4:5], off
	global_load_b128 v[0:3], v[6:7], off
	s_wait_loadcnt 0x1
	s_wait_xcnt 0x1
	v_lshl_add_u64 v[4:5], v[8:9], 4, s[6:7]
	s_wait_loadcnt 0x0
	global_store_b128 v[4:5], v[0:3], off
.LBB65_2:
	s_endpgm
	.section	.rodata,"a",@progbits
	.p2align	6, 0x0
	.amdhsa_kernel _ZN9rocsparseL25kernel_set_permuted_arrayILj256E21rocsparse_complex_numIdElEEvT1_PT0_PKS4_PKS3_
		.amdhsa_group_segment_fixed_size 0
		.amdhsa_private_segment_fixed_size 0
		.amdhsa_kernarg_size 288
		.amdhsa_user_sgpr_count 2
		.amdhsa_user_sgpr_dispatch_ptr 0
		.amdhsa_user_sgpr_queue_ptr 0
		.amdhsa_user_sgpr_kernarg_segment_ptr 1
		.amdhsa_user_sgpr_dispatch_id 0
		.amdhsa_user_sgpr_kernarg_preload_length 0
		.amdhsa_user_sgpr_kernarg_preload_offset 0
		.amdhsa_user_sgpr_private_segment_size 0
		.amdhsa_wavefront_size32 1
		.amdhsa_uses_dynamic_stack 0
		.amdhsa_enable_private_segment 0
		.amdhsa_system_sgpr_workgroup_id_x 1
		.amdhsa_system_sgpr_workgroup_id_y 0
		.amdhsa_system_sgpr_workgroup_id_z 0
		.amdhsa_system_sgpr_workgroup_info 0
		.amdhsa_system_vgpr_workitem_id 0
		.amdhsa_next_free_vgpr 10
		.amdhsa_next_free_sgpr 13
		.amdhsa_named_barrier_count 0
		.amdhsa_reserve_vcc 0
		.amdhsa_float_round_mode_32 0
		.amdhsa_float_round_mode_16_64 0
		.amdhsa_float_denorm_mode_32 3
		.amdhsa_float_denorm_mode_16_64 3
		.amdhsa_fp16_overflow 0
		.amdhsa_memory_ordered 1
		.amdhsa_forward_progress 1
		.amdhsa_inst_pref_size 2
		.amdhsa_round_robin_scheduling 0
		.amdhsa_exception_fp_ieee_invalid_op 0
		.amdhsa_exception_fp_denorm_src 0
		.amdhsa_exception_fp_ieee_div_zero 0
		.amdhsa_exception_fp_ieee_overflow 0
		.amdhsa_exception_fp_ieee_underflow 0
		.amdhsa_exception_fp_ieee_inexact 0
		.amdhsa_exception_int_div_zero 0
	.end_amdhsa_kernel
	.section	.text._ZN9rocsparseL25kernel_set_permuted_arrayILj256E21rocsparse_complex_numIdElEEvT1_PT0_PKS4_PKS3_,"axG",@progbits,_ZN9rocsparseL25kernel_set_permuted_arrayILj256E21rocsparse_complex_numIdElEEvT1_PT0_PKS4_PKS3_,comdat
.Lfunc_end65:
	.size	_ZN9rocsparseL25kernel_set_permuted_arrayILj256E21rocsparse_complex_numIdElEEvT1_PT0_PKS4_PKS3_, .Lfunc_end65-_ZN9rocsparseL25kernel_set_permuted_arrayILj256E21rocsparse_complex_numIdElEEvT1_PT0_PKS4_PKS3_
                                        ; -- End function
	.set _ZN9rocsparseL25kernel_set_permuted_arrayILj256E21rocsparse_complex_numIdElEEvT1_PT0_PKS4_PKS3_.num_vgpr, 10
	.set _ZN9rocsparseL25kernel_set_permuted_arrayILj256E21rocsparse_complex_numIdElEEvT1_PT0_PKS4_PKS3_.num_agpr, 0
	.set _ZN9rocsparseL25kernel_set_permuted_arrayILj256E21rocsparse_complex_numIdElEEvT1_PT0_PKS4_PKS3_.numbered_sgpr, 13
	.set _ZN9rocsparseL25kernel_set_permuted_arrayILj256E21rocsparse_complex_numIdElEEvT1_PT0_PKS4_PKS3_.num_named_barrier, 0
	.set _ZN9rocsparseL25kernel_set_permuted_arrayILj256E21rocsparse_complex_numIdElEEvT1_PT0_PKS4_PKS3_.private_seg_size, 0
	.set _ZN9rocsparseL25kernel_set_permuted_arrayILj256E21rocsparse_complex_numIdElEEvT1_PT0_PKS4_PKS3_.uses_vcc, 0
	.set _ZN9rocsparseL25kernel_set_permuted_arrayILj256E21rocsparse_complex_numIdElEEvT1_PT0_PKS4_PKS3_.uses_flat_scratch, 0
	.set _ZN9rocsparseL25kernel_set_permuted_arrayILj256E21rocsparse_complex_numIdElEEvT1_PT0_PKS4_PKS3_.has_dyn_sized_stack, 0
	.set _ZN9rocsparseL25kernel_set_permuted_arrayILj256E21rocsparse_complex_numIdElEEvT1_PT0_PKS4_PKS3_.has_recursion, 0
	.set _ZN9rocsparseL25kernel_set_permuted_arrayILj256E21rocsparse_complex_numIdElEEvT1_PT0_PKS4_PKS3_.has_indirect_call, 0
	.section	.AMDGPU.csdata,"",@progbits
; Kernel info:
; codeLenInByte = 176
; TotalNumSgprs: 13
; NumVgprs: 10
; ScratchSize: 0
; MemoryBound: 0
; FloatMode: 240
; IeeeMode: 1
; LDSByteSize: 0 bytes/workgroup (compile time only)
; SGPRBlocks: 0
; VGPRBlocks: 0
; NumSGPRsForWavesPerEU: 13
; NumVGPRsForWavesPerEU: 10
; NamedBarCnt: 0
; Occupancy: 16
; WaveLimiterHint : 1
; COMPUTE_PGM_RSRC2:SCRATCH_EN: 0
; COMPUTE_PGM_RSRC2:USER_SGPR: 2
; COMPUTE_PGM_RSRC2:TRAP_HANDLER: 0
; COMPUTE_PGM_RSRC2:TGID_X_EN: 1
; COMPUTE_PGM_RSRC2:TGID_Y_EN: 0
; COMPUTE_PGM_RSRC2:TGID_Z_EN: 0
; COMPUTE_PGM_RSRC2:TIDIG_COMP_CNT: 0
	.section	.text._ZN9rocsparseL25kernel_set_identity_arrayILj512EflEEvT1_PT0_,"axG",@progbits,_ZN9rocsparseL25kernel_set_identity_arrayILj512EflEEvT1_PT0_,comdat
	.globl	_ZN9rocsparseL25kernel_set_identity_arrayILj512EflEEvT1_PT0_ ; -- Begin function _ZN9rocsparseL25kernel_set_identity_arrayILj512EflEEvT1_PT0_
	.p2align	8
	.type	_ZN9rocsparseL25kernel_set_identity_arrayILj512EflEEvT1_PT0_,@function
_ZN9rocsparseL25kernel_set_identity_arrayILj512EflEEvT1_PT0_: ; @_ZN9rocsparseL25kernel_set_identity_arrayILj512EflEEvT1_PT0_
; %bb.0:
	s_clause 0x1
	s_load_b32 s2, s[0:1], 0x1c
	s_load_b128 s[4:7], s[0:1], 0x0
	s_wait_xcnt 0x0
	s_bfe_u32 s0, ttmp6, 0x4000c
	s_and_b32 s1, ttmp6, 15
	s_add_co_i32 s0, s0, 1
	s_getreg_b32 s3, hwreg(HW_REG_IB_STS2, 6, 4)
	s_mul_i32 s0, ttmp9, s0
	v_mov_b32_e32 v1, 0
	s_add_co_i32 s1, s1, s0
	s_wait_kmcnt 0x0
	s_and_b32 s2, s2, 0xffff
	s_cmp_eq_u32 s3, 0
	s_cselect_b32 s0, ttmp9, s1
	s_delay_alu instid0(SALU_CYCLE_1) | instskip(SKIP_1) | instid1(VALU_DEP_1)
	v_mad_u32 v0, s0, s2, v0
	s_mov_b32 s0, exec_lo
	v_cmpx_gt_i64_e64 s[4:5], v[0:1]
	s_cbranch_execz .LBB66_2
; %bb.1:
	v_lshl_add_u64 v[0:1], v[0:1], 2, s[6:7]
	v_mov_b32_e32 v2, 1.0
	global_store_b32 v[0:1], v2, off
.LBB66_2:
	s_endpgm
	.section	.rodata,"a",@progbits
	.p2align	6, 0x0
	.amdhsa_kernel _ZN9rocsparseL25kernel_set_identity_arrayILj512EflEEvT1_PT0_
		.amdhsa_group_segment_fixed_size 0
		.amdhsa_private_segment_fixed_size 0
		.amdhsa_kernarg_size 272
		.amdhsa_user_sgpr_count 2
		.amdhsa_user_sgpr_dispatch_ptr 0
		.amdhsa_user_sgpr_queue_ptr 0
		.amdhsa_user_sgpr_kernarg_segment_ptr 1
		.amdhsa_user_sgpr_dispatch_id 0
		.amdhsa_user_sgpr_kernarg_preload_length 0
		.amdhsa_user_sgpr_kernarg_preload_offset 0
		.amdhsa_user_sgpr_private_segment_size 0
		.amdhsa_wavefront_size32 1
		.amdhsa_uses_dynamic_stack 0
		.amdhsa_enable_private_segment 0
		.amdhsa_system_sgpr_workgroup_id_x 1
		.amdhsa_system_sgpr_workgroup_id_y 0
		.amdhsa_system_sgpr_workgroup_id_z 0
		.amdhsa_system_sgpr_workgroup_info 0
		.amdhsa_system_vgpr_workitem_id 0
		.amdhsa_next_free_vgpr 3
		.amdhsa_next_free_sgpr 8
		.amdhsa_named_barrier_count 0
		.amdhsa_reserve_vcc 0
		.amdhsa_float_round_mode_32 0
		.amdhsa_float_round_mode_16_64 0
		.amdhsa_float_denorm_mode_32 3
		.amdhsa_float_denorm_mode_16_64 3
		.amdhsa_fp16_overflow 0
		.amdhsa_memory_ordered 1
		.amdhsa_forward_progress 1
		.amdhsa_inst_pref_size 2
		.amdhsa_round_robin_scheduling 0
		.amdhsa_exception_fp_ieee_invalid_op 0
		.amdhsa_exception_fp_denorm_src 0
		.amdhsa_exception_fp_ieee_div_zero 0
		.amdhsa_exception_fp_ieee_overflow 0
		.amdhsa_exception_fp_ieee_underflow 0
		.amdhsa_exception_fp_ieee_inexact 0
		.amdhsa_exception_int_div_zero 0
	.end_amdhsa_kernel
	.section	.text._ZN9rocsparseL25kernel_set_identity_arrayILj512EflEEvT1_PT0_,"axG",@progbits,_ZN9rocsparseL25kernel_set_identity_arrayILj512EflEEvT1_PT0_,comdat
.Lfunc_end66:
	.size	_ZN9rocsparseL25kernel_set_identity_arrayILj512EflEEvT1_PT0_, .Lfunc_end66-_ZN9rocsparseL25kernel_set_identity_arrayILj512EflEEvT1_PT0_
                                        ; -- End function
	.set _ZN9rocsparseL25kernel_set_identity_arrayILj512EflEEvT1_PT0_.num_vgpr, 3
	.set _ZN9rocsparseL25kernel_set_identity_arrayILj512EflEEvT1_PT0_.num_agpr, 0
	.set _ZN9rocsparseL25kernel_set_identity_arrayILj512EflEEvT1_PT0_.numbered_sgpr, 8
	.set _ZN9rocsparseL25kernel_set_identity_arrayILj512EflEEvT1_PT0_.num_named_barrier, 0
	.set _ZN9rocsparseL25kernel_set_identity_arrayILj512EflEEvT1_PT0_.private_seg_size, 0
	.set _ZN9rocsparseL25kernel_set_identity_arrayILj512EflEEvT1_PT0_.uses_vcc, 0
	.set _ZN9rocsparseL25kernel_set_identity_arrayILj512EflEEvT1_PT0_.uses_flat_scratch, 0
	.set _ZN9rocsparseL25kernel_set_identity_arrayILj512EflEEvT1_PT0_.has_dyn_sized_stack, 0
	.set _ZN9rocsparseL25kernel_set_identity_arrayILj512EflEEvT1_PT0_.has_recursion, 0
	.set _ZN9rocsparseL25kernel_set_identity_arrayILj512EflEEvT1_PT0_.has_indirect_call, 0
	.section	.AMDGPU.csdata,"",@progbits
; Kernel info:
; codeLenInByte = 132
; TotalNumSgprs: 8
; NumVgprs: 3
; ScratchSize: 0
; MemoryBound: 0
; FloatMode: 240
; IeeeMode: 1
; LDSByteSize: 0 bytes/workgroup (compile time only)
; SGPRBlocks: 0
; VGPRBlocks: 0
; NumSGPRsForWavesPerEU: 8
; NumVGPRsForWavesPerEU: 3
; NamedBarCnt: 0
; Occupancy: 16
; WaveLimiterHint : 0
; COMPUTE_PGM_RSRC2:SCRATCH_EN: 0
; COMPUTE_PGM_RSRC2:USER_SGPR: 2
; COMPUTE_PGM_RSRC2:TRAP_HANDLER: 0
; COMPUTE_PGM_RSRC2:TGID_X_EN: 1
; COMPUTE_PGM_RSRC2:TGID_Y_EN: 0
; COMPUTE_PGM_RSRC2:TGID_Z_EN: 0
; COMPUTE_PGM_RSRC2:TIDIG_COMP_CNT: 0
	.section	.text._ZN9rocsparseL25kernel_get_permuted_arrayILj512EflEEvT1_PKT0_PS2_PKS1_,"axG",@progbits,_ZN9rocsparseL25kernel_get_permuted_arrayILj512EflEEvT1_PKT0_PS2_PKS1_,comdat
	.globl	_ZN9rocsparseL25kernel_get_permuted_arrayILj512EflEEvT1_PKT0_PS2_PKS1_ ; -- Begin function _ZN9rocsparseL25kernel_get_permuted_arrayILj512EflEEvT1_PKT0_PS2_PKS1_
	.p2align	8
	.type	_ZN9rocsparseL25kernel_get_permuted_arrayILj512EflEEvT1_PKT0_PS2_PKS1_,@function
_ZN9rocsparseL25kernel_get_permuted_arrayILj512EflEEvT1_PKT0_PS2_PKS1_: ; @_ZN9rocsparseL25kernel_get_permuted_arrayILj512EflEEvT1_PKT0_PS2_PKS1_
; %bb.0:
	s_load_b32 s2, s[0:1], 0x2c
	s_bfe_u32 s12, ttmp6, 0x4000c
	s_load_b256 s[4:11], s[0:1], 0x0
	s_add_co_i32 s12, s12, 1
	s_and_b32 s3, ttmp6, 15
	s_wait_xcnt 0x0
	s_mul_i32 s1, ttmp9, s12
	s_getreg_b32 s0, hwreg(HW_REG_IB_STS2, 6, 4)
	s_add_co_i32 s3, s3, s1
	v_mov_b32_e32 v1, 0
	s_wait_kmcnt 0x0
	s_and_b32 s2, s2, 0xffff
	s_cmp_eq_u32 s0, 0
	s_cselect_b32 s0, ttmp9, s3
	s_delay_alu instid0(SALU_CYCLE_1) | instskip(SKIP_1) | instid1(VALU_DEP_1)
	v_mad_u32 v0, s0, s2, v0
	s_mov_b32 s0, exec_lo
	v_cmpx_gt_i64_e64 s[4:5], v[0:1]
	s_cbranch_execz .LBB67_2
; %bb.1:
	v_lshl_add_u64 v[2:3], v[0:1], 3, s[10:11]
	v_lshl_add_u64 v[0:1], v[0:1], 2, s[8:9]
	global_load_b64 v[2:3], v[2:3], off
	s_wait_loadcnt 0x0
	v_lshl_add_u64 v[2:3], v[2:3], 2, s[6:7]
	global_load_b32 v2, v[2:3], off
	s_wait_loadcnt 0x0
	global_store_b32 v[0:1], v2, off
.LBB67_2:
	s_endpgm
	.section	.rodata,"a",@progbits
	.p2align	6, 0x0
	.amdhsa_kernel _ZN9rocsparseL25kernel_get_permuted_arrayILj512EflEEvT1_PKT0_PS2_PKS1_
		.amdhsa_group_segment_fixed_size 0
		.amdhsa_private_segment_fixed_size 0
		.amdhsa_kernarg_size 288
		.amdhsa_user_sgpr_count 2
		.amdhsa_user_sgpr_dispatch_ptr 0
		.amdhsa_user_sgpr_queue_ptr 0
		.amdhsa_user_sgpr_kernarg_segment_ptr 1
		.amdhsa_user_sgpr_dispatch_id 0
		.amdhsa_user_sgpr_kernarg_preload_length 0
		.amdhsa_user_sgpr_kernarg_preload_offset 0
		.amdhsa_user_sgpr_private_segment_size 0
		.amdhsa_wavefront_size32 1
		.amdhsa_uses_dynamic_stack 0
		.amdhsa_enable_private_segment 0
		.amdhsa_system_sgpr_workgroup_id_x 1
		.amdhsa_system_sgpr_workgroup_id_y 0
		.amdhsa_system_sgpr_workgroup_id_z 0
		.amdhsa_system_sgpr_workgroup_info 0
		.amdhsa_system_vgpr_workitem_id 0
		.amdhsa_next_free_vgpr 4
		.amdhsa_next_free_sgpr 13
		.amdhsa_named_barrier_count 0
		.amdhsa_reserve_vcc 0
		.amdhsa_float_round_mode_32 0
		.amdhsa_float_round_mode_16_64 0
		.amdhsa_float_denorm_mode_32 3
		.amdhsa_float_denorm_mode_16_64 3
		.amdhsa_fp16_overflow 0
		.amdhsa_memory_ordered 1
		.amdhsa_forward_progress 1
		.amdhsa_inst_pref_size 2
		.amdhsa_round_robin_scheduling 0
		.amdhsa_exception_fp_ieee_invalid_op 0
		.amdhsa_exception_fp_denorm_src 0
		.amdhsa_exception_fp_ieee_div_zero 0
		.amdhsa_exception_fp_ieee_overflow 0
		.amdhsa_exception_fp_ieee_underflow 0
		.amdhsa_exception_fp_ieee_inexact 0
		.amdhsa_exception_int_div_zero 0
	.end_amdhsa_kernel
	.section	.text._ZN9rocsparseL25kernel_get_permuted_arrayILj512EflEEvT1_PKT0_PS2_PKS1_,"axG",@progbits,_ZN9rocsparseL25kernel_get_permuted_arrayILj512EflEEvT1_PKT0_PS2_PKS1_,comdat
.Lfunc_end67:
	.size	_ZN9rocsparseL25kernel_get_permuted_arrayILj512EflEEvT1_PKT0_PS2_PKS1_, .Lfunc_end67-_ZN9rocsparseL25kernel_get_permuted_arrayILj512EflEEvT1_PKT0_PS2_PKS1_
                                        ; -- End function
	.set _ZN9rocsparseL25kernel_get_permuted_arrayILj512EflEEvT1_PKT0_PS2_PKS1_.num_vgpr, 4
	.set _ZN9rocsparseL25kernel_get_permuted_arrayILj512EflEEvT1_PKT0_PS2_PKS1_.num_agpr, 0
	.set _ZN9rocsparseL25kernel_get_permuted_arrayILj512EflEEvT1_PKT0_PS2_PKS1_.numbered_sgpr, 13
	.set _ZN9rocsparseL25kernel_get_permuted_arrayILj512EflEEvT1_PKT0_PS2_PKS1_.num_named_barrier, 0
	.set _ZN9rocsparseL25kernel_get_permuted_arrayILj512EflEEvT1_PKT0_PS2_PKS1_.private_seg_size, 0
	.set _ZN9rocsparseL25kernel_get_permuted_arrayILj512EflEEvT1_PKT0_PS2_PKS1_.uses_vcc, 0
	.set _ZN9rocsparseL25kernel_get_permuted_arrayILj512EflEEvT1_PKT0_PS2_PKS1_.uses_flat_scratch, 0
	.set _ZN9rocsparseL25kernel_get_permuted_arrayILj512EflEEvT1_PKT0_PS2_PKS1_.has_dyn_sized_stack, 0
	.set _ZN9rocsparseL25kernel_get_permuted_arrayILj512EflEEvT1_PKT0_PS2_PKS1_.has_recursion, 0
	.set _ZN9rocsparseL25kernel_get_permuted_arrayILj512EflEEvT1_PKT0_PS2_PKS1_.has_indirect_call, 0
	.section	.AMDGPU.csdata,"",@progbits
; Kernel info:
; codeLenInByte = 172
; TotalNumSgprs: 13
; NumVgprs: 4
; ScratchSize: 0
; MemoryBound: 0
; FloatMode: 240
; IeeeMode: 1
; LDSByteSize: 0 bytes/workgroup (compile time only)
; SGPRBlocks: 0
; VGPRBlocks: 0
; NumSGPRsForWavesPerEU: 13
; NumVGPRsForWavesPerEU: 4
; NamedBarCnt: 0
; Occupancy: 16
; WaveLimiterHint : 1
; COMPUTE_PGM_RSRC2:SCRATCH_EN: 0
; COMPUTE_PGM_RSRC2:USER_SGPR: 2
; COMPUTE_PGM_RSRC2:TRAP_HANDLER: 0
; COMPUTE_PGM_RSRC2:TGID_X_EN: 1
; COMPUTE_PGM_RSRC2:TGID_Y_EN: 0
; COMPUTE_PGM_RSRC2:TGID_Z_EN: 0
; COMPUTE_PGM_RSRC2:TIDIG_COMP_CNT: 0
	.section	.text._ZN9rocsparseL25kernel_set_permuted_arrayILj512EflEEvT1_PT0_PKS2_PKS1_,"axG",@progbits,_ZN9rocsparseL25kernel_set_permuted_arrayILj512EflEEvT1_PT0_PKS2_PKS1_,comdat
	.globl	_ZN9rocsparseL25kernel_set_permuted_arrayILj512EflEEvT1_PT0_PKS2_PKS1_ ; -- Begin function _ZN9rocsparseL25kernel_set_permuted_arrayILj512EflEEvT1_PT0_PKS2_PKS1_
	.p2align	8
	.type	_ZN9rocsparseL25kernel_set_permuted_arrayILj512EflEEvT1_PT0_PKS2_PKS1_,@function
_ZN9rocsparseL25kernel_set_permuted_arrayILj512EflEEvT1_PT0_PKS2_PKS1_: ; @_ZN9rocsparseL25kernel_set_permuted_arrayILj512EflEEvT1_PT0_PKS2_PKS1_
; %bb.0:
	s_load_b32 s2, s[0:1], 0x2c
	s_bfe_u32 s12, ttmp6, 0x4000c
	s_load_b256 s[4:11], s[0:1], 0x0
	s_add_co_i32 s12, s12, 1
	s_and_b32 s3, ttmp6, 15
	s_wait_xcnt 0x0
	s_mul_i32 s1, ttmp9, s12
	s_getreg_b32 s0, hwreg(HW_REG_IB_STS2, 6, 4)
	s_add_co_i32 s3, s3, s1
	v_mov_b32_e32 v1, 0
	s_wait_kmcnt 0x0
	s_and_b32 s2, s2, 0xffff
	s_cmp_eq_u32 s0, 0
	s_cselect_b32 s0, ttmp9, s3
	s_delay_alu instid0(SALU_CYCLE_1) | instskip(SKIP_1) | instid1(VALU_DEP_1)
	v_mad_u32 v0, s0, s2, v0
	s_mov_b32 s0, exec_lo
	v_cmpx_gt_i64_e64 s[4:5], v[0:1]
	s_cbranch_execz .LBB68_2
; %bb.1:
	v_lshl_add_u64 v[2:3], v[0:1], 3, s[10:11]
	v_lshl_add_u64 v[0:1], v[0:1], 2, s[8:9]
	global_load_b64 v[4:5], v[2:3], off
	global_load_b32 v6, v[0:1], off
	s_wait_loadcnt 0x1
	s_wait_xcnt 0x0
	v_lshl_add_u64 v[0:1], v[4:5], 2, s[6:7]
	s_wait_loadcnt 0x0
	global_store_b32 v[0:1], v6, off
.LBB68_2:
	s_endpgm
	.section	.rodata,"a",@progbits
	.p2align	6, 0x0
	.amdhsa_kernel _ZN9rocsparseL25kernel_set_permuted_arrayILj512EflEEvT1_PT0_PKS2_PKS1_
		.amdhsa_group_segment_fixed_size 0
		.amdhsa_private_segment_fixed_size 0
		.amdhsa_kernarg_size 288
		.amdhsa_user_sgpr_count 2
		.amdhsa_user_sgpr_dispatch_ptr 0
		.amdhsa_user_sgpr_queue_ptr 0
		.amdhsa_user_sgpr_kernarg_segment_ptr 1
		.amdhsa_user_sgpr_dispatch_id 0
		.amdhsa_user_sgpr_kernarg_preload_length 0
		.amdhsa_user_sgpr_kernarg_preload_offset 0
		.amdhsa_user_sgpr_private_segment_size 0
		.amdhsa_wavefront_size32 1
		.amdhsa_uses_dynamic_stack 0
		.amdhsa_enable_private_segment 0
		.amdhsa_system_sgpr_workgroup_id_x 1
		.amdhsa_system_sgpr_workgroup_id_y 0
		.amdhsa_system_sgpr_workgroup_id_z 0
		.amdhsa_system_sgpr_workgroup_info 0
		.amdhsa_system_vgpr_workitem_id 0
		.amdhsa_next_free_vgpr 7
		.amdhsa_next_free_sgpr 13
		.amdhsa_named_barrier_count 0
		.amdhsa_reserve_vcc 0
		.amdhsa_float_round_mode_32 0
		.amdhsa_float_round_mode_16_64 0
		.amdhsa_float_denorm_mode_32 3
		.amdhsa_float_denorm_mode_16_64 3
		.amdhsa_fp16_overflow 0
		.amdhsa_memory_ordered 1
		.amdhsa_forward_progress 1
		.amdhsa_inst_pref_size 2
		.amdhsa_round_robin_scheduling 0
		.amdhsa_exception_fp_ieee_invalid_op 0
		.amdhsa_exception_fp_denorm_src 0
		.amdhsa_exception_fp_ieee_div_zero 0
		.amdhsa_exception_fp_ieee_overflow 0
		.amdhsa_exception_fp_ieee_underflow 0
		.amdhsa_exception_fp_ieee_inexact 0
		.amdhsa_exception_int_div_zero 0
	.end_amdhsa_kernel
	.section	.text._ZN9rocsparseL25kernel_set_permuted_arrayILj512EflEEvT1_PT0_PKS2_PKS1_,"axG",@progbits,_ZN9rocsparseL25kernel_set_permuted_arrayILj512EflEEvT1_PT0_PKS2_PKS1_,comdat
.Lfunc_end68:
	.size	_ZN9rocsparseL25kernel_set_permuted_arrayILj512EflEEvT1_PT0_PKS2_PKS1_, .Lfunc_end68-_ZN9rocsparseL25kernel_set_permuted_arrayILj512EflEEvT1_PT0_PKS2_PKS1_
                                        ; -- End function
	.set _ZN9rocsparseL25kernel_set_permuted_arrayILj512EflEEvT1_PT0_PKS2_PKS1_.num_vgpr, 7
	.set _ZN9rocsparseL25kernel_set_permuted_arrayILj512EflEEvT1_PT0_PKS2_PKS1_.num_agpr, 0
	.set _ZN9rocsparseL25kernel_set_permuted_arrayILj512EflEEvT1_PT0_PKS2_PKS1_.numbered_sgpr, 13
	.set _ZN9rocsparseL25kernel_set_permuted_arrayILj512EflEEvT1_PT0_PKS2_PKS1_.num_named_barrier, 0
	.set _ZN9rocsparseL25kernel_set_permuted_arrayILj512EflEEvT1_PT0_PKS2_PKS1_.private_seg_size, 0
	.set _ZN9rocsparseL25kernel_set_permuted_arrayILj512EflEEvT1_PT0_PKS2_PKS1_.uses_vcc, 0
	.set _ZN9rocsparseL25kernel_set_permuted_arrayILj512EflEEvT1_PT0_PKS2_PKS1_.uses_flat_scratch, 0
	.set _ZN9rocsparseL25kernel_set_permuted_arrayILj512EflEEvT1_PT0_PKS2_PKS1_.has_dyn_sized_stack, 0
	.set _ZN9rocsparseL25kernel_set_permuted_arrayILj512EflEEvT1_PT0_PKS2_PKS1_.has_recursion, 0
	.set _ZN9rocsparseL25kernel_set_permuted_arrayILj512EflEEvT1_PT0_PKS2_PKS1_.has_indirect_call, 0
	.section	.AMDGPU.csdata,"",@progbits
; Kernel info:
; codeLenInByte = 176
; TotalNumSgprs: 13
; NumVgprs: 7
; ScratchSize: 0
; MemoryBound: 0
; FloatMode: 240
; IeeeMode: 1
; LDSByteSize: 0 bytes/workgroup (compile time only)
; SGPRBlocks: 0
; VGPRBlocks: 0
; NumSGPRsForWavesPerEU: 13
; NumVGPRsForWavesPerEU: 7
; NamedBarCnt: 0
; Occupancy: 16
; WaveLimiterHint : 1
; COMPUTE_PGM_RSRC2:SCRATCH_EN: 0
; COMPUTE_PGM_RSRC2:USER_SGPR: 2
; COMPUTE_PGM_RSRC2:TRAP_HANDLER: 0
; COMPUTE_PGM_RSRC2:TGID_X_EN: 1
; COMPUTE_PGM_RSRC2:TGID_Y_EN: 0
; COMPUTE_PGM_RSRC2:TGID_Z_EN: 0
; COMPUTE_PGM_RSRC2:TIDIG_COMP_CNT: 0
	.section	.text._ZN9rocsparseL25kernel_set_identity_arrayILj512EdlEEvT1_PT0_,"axG",@progbits,_ZN9rocsparseL25kernel_set_identity_arrayILj512EdlEEvT1_PT0_,comdat
	.globl	_ZN9rocsparseL25kernel_set_identity_arrayILj512EdlEEvT1_PT0_ ; -- Begin function _ZN9rocsparseL25kernel_set_identity_arrayILj512EdlEEvT1_PT0_
	.p2align	8
	.type	_ZN9rocsparseL25kernel_set_identity_arrayILj512EdlEEvT1_PT0_,@function
_ZN9rocsparseL25kernel_set_identity_arrayILj512EdlEEvT1_PT0_: ; @_ZN9rocsparseL25kernel_set_identity_arrayILj512EdlEEvT1_PT0_
; %bb.0:
	s_clause 0x1
	s_load_b32 s2, s[0:1], 0x1c
	s_load_b128 s[4:7], s[0:1], 0x0
	s_wait_xcnt 0x0
	s_bfe_u32 s0, ttmp6, 0x4000c
	s_and_b32 s1, ttmp6, 15
	s_add_co_i32 s0, s0, 1
	s_getreg_b32 s3, hwreg(HW_REG_IB_STS2, 6, 4)
	s_mul_i32 s0, ttmp9, s0
	v_mov_b32_e32 v1, 0
	s_add_co_i32 s1, s1, s0
	s_wait_kmcnt 0x0
	s_and_b32 s2, s2, 0xffff
	s_cmp_eq_u32 s3, 0
	s_cselect_b32 s0, ttmp9, s1
	s_delay_alu instid0(SALU_CYCLE_1) | instskip(SKIP_1) | instid1(VALU_DEP_1)
	v_mad_u32 v0, s0, s2, v0
	s_mov_b32 s0, exec_lo
	v_cmpx_gt_i64_e64 s[4:5], v[0:1]
	s_cbranch_execz .LBB69_2
; %bb.1:
	v_mov_b64_e32 v[2:3], 1.0
	v_lshl_add_u64 v[0:1], v[0:1], 3, s[6:7]
	global_store_b64 v[0:1], v[2:3], off
.LBB69_2:
	s_endpgm
	.section	.rodata,"a",@progbits
	.p2align	6, 0x0
	.amdhsa_kernel _ZN9rocsparseL25kernel_set_identity_arrayILj512EdlEEvT1_PT0_
		.amdhsa_group_segment_fixed_size 0
		.amdhsa_private_segment_fixed_size 0
		.amdhsa_kernarg_size 272
		.amdhsa_user_sgpr_count 2
		.amdhsa_user_sgpr_dispatch_ptr 0
		.amdhsa_user_sgpr_queue_ptr 0
		.amdhsa_user_sgpr_kernarg_segment_ptr 1
		.amdhsa_user_sgpr_dispatch_id 0
		.amdhsa_user_sgpr_kernarg_preload_length 0
		.amdhsa_user_sgpr_kernarg_preload_offset 0
		.amdhsa_user_sgpr_private_segment_size 0
		.amdhsa_wavefront_size32 1
		.amdhsa_uses_dynamic_stack 0
		.amdhsa_enable_private_segment 0
		.amdhsa_system_sgpr_workgroup_id_x 1
		.amdhsa_system_sgpr_workgroup_id_y 0
		.amdhsa_system_sgpr_workgroup_id_z 0
		.amdhsa_system_sgpr_workgroup_info 0
		.amdhsa_system_vgpr_workitem_id 0
		.amdhsa_next_free_vgpr 4
		.amdhsa_next_free_sgpr 8
		.amdhsa_named_barrier_count 0
		.amdhsa_reserve_vcc 0
		.amdhsa_float_round_mode_32 0
		.amdhsa_float_round_mode_16_64 0
		.amdhsa_float_denorm_mode_32 3
		.amdhsa_float_denorm_mode_16_64 3
		.amdhsa_fp16_overflow 0
		.amdhsa_memory_ordered 1
		.amdhsa_forward_progress 1
		.amdhsa_inst_pref_size 2
		.amdhsa_round_robin_scheduling 0
		.amdhsa_exception_fp_ieee_invalid_op 0
		.amdhsa_exception_fp_denorm_src 0
		.amdhsa_exception_fp_ieee_div_zero 0
		.amdhsa_exception_fp_ieee_overflow 0
		.amdhsa_exception_fp_ieee_underflow 0
		.amdhsa_exception_fp_ieee_inexact 0
		.amdhsa_exception_int_div_zero 0
	.end_amdhsa_kernel
	.section	.text._ZN9rocsparseL25kernel_set_identity_arrayILj512EdlEEvT1_PT0_,"axG",@progbits,_ZN9rocsparseL25kernel_set_identity_arrayILj512EdlEEvT1_PT0_,comdat
.Lfunc_end69:
	.size	_ZN9rocsparseL25kernel_set_identity_arrayILj512EdlEEvT1_PT0_, .Lfunc_end69-_ZN9rocsparseL25kernel_set_identity_arrayILj512EdlEEvT1_PT0_
                                        ; -- End function
	.set _ZN9rocsparseL25kernel_set_identity_arrayILj512EdlEEvT1_PT0_.num_vgpr, 4
	.set _ZN9rocsparseL25kernel_set_identity_arrayILj512EdlEEvT1_PT0_.num_agpr, 0
	.set _ZN9rocsparseL25kernel_set_identity_arrayILj512EdlEEvT1_PT0_.numbered_sgpr, 8
	.set _ZN9rocsparseL25kernel_set_identity_arrayILj512EdlEEvT1_PT0_.num_named_barrier, 0
	.set _ZN9rocsparseL25kernel_set_identity_arrayILj512EdlEEvT1_PT0_.private_seg_size, 0
	.set _ZN9rocsparseL25kernel_set_identity_arrayILj512EdlEEvT1_PT0_.uses_vcc, 0
	.set _ZN9rocsparseL25kernel_set_identity_arrayILj512EdlEEvT1_PT0_.uses_flat_scratch, 0
	.set _ZN9rocsparseL25kernel_set_identity_arrayILj512EdlEEvT1_PT0_.has_dyn_sized_stack, 0
	.set _ZN9rocsparseL25kernel_set_identity_arrayILj512EdlEEvT1_PT0_.has_recursion, 0
	.set _ZN9rocsparseL25kernel_set_identity_arrayILj512EdlEEvT1_PT0_.has_indirect_call, 0
	.section	.AMDGPU.csdata,"",@progbits
; Kernel info:
; codeLenInByte = 132
; TotalNumSgprs: 8
; NumVgprs: 4
; ScratchSize: 0
; MemoryBound: 0
; FloatMode: 240
; IeeeMode: 1
; LDSByteSize: 0 bytes/workgroup (compile time only)
; SGPRBlocks: 0
; VGPRBlocks: 0
; NumSGPRsForWavesPerEU: 8
; NumVGPRsForWavesPerEU: 4
; NamedBarCnt: 0
; Occupancy: 16
; WaveLimiterHint : 0
; COMPUTE_PGM_RSRC2:SCRATCH_EN: 0
; COMPUTE_PGM_RSRC2:USER_SGPR: 2
; COMPUTE_PGM_RSRC2:TRAP_HANDLER: 0
; COMPUTE_PGM_RSRC2:TGID_X_EN: 1
; COMPUTE_PGM_RSRC2:TGID_Y_EN: 0
; COMPUTE_PGM_RSRC2:TGID_Z_EN: 0
; COMPUTE_PGM_RSRC2:TIDIG_COMP_CNT: 0
	.section	.text._ZN9rocsparseL25kernel_get_permuted_arrayILj512EdlEEvT1_PKT0_PS2_PKS1_,"axG",@progbits,_ZN9rocsparseL25kernel_get_permuted_arrayILj512EdlEEvT1_PKT0_PS2_PKS1_,comdat
	.globl	_ZN9rocsparseL25kernel_get_permuted_arrayILj512EdlEEvT1_PKT0_PS2_PKS1_ ; -- Begin function _ZN9rocsparseL25kernel_get_permuted_arrayILj512EdlEEvT1_PKT0_PS2_PKS1_
	.p2align	8
	.type	_ZN9rocsparseL25kernel_get_permuted_arrayILj512EdlEEvT1_PKT0_PS2_PKS1_,@function
_ZN9rocsparseL25kernel_get_permuted_arrayILj512EdlEEvT1_PKT0_PS2_PKS1_: ; @_ZN9rocsparseL25kernel_get_permuted_arrayILj512EdlEEvT1_PKT0_PS2_PKS1_
; %bb.0:
	s_load_b32 s2, s[0:1], 0x2c
	s_bfe_u32 s12, ttmp6, 0x4000c
	s_load_b256 s[4:11], s[0:1], 0x0
	s_add_co_i32 s12, s12, 1
	s_and_b32 s3, ttmp6, 15
	s_wait_xcnt 0x0
	s_mul_i32 s1, ttmp9, s12
	s_getreg_b32 s0, hwreg(HW_REG_IB_STS2, 6, 4)
	s_add_co_i32 s3, s3, s1
	v_mov_b32_e32 v1, 0
	s_wait_kmcnt 0x0
	s_and_b32 s2, s2, 0xffff
	s_cmp_eq_u32 s0, 0
	s_cselect_b32 s0, ttmp9, s3
	s_delay_alu instid0(SALU_CYCLE_1) | instskip(SKIP_1) | instid1(VALU_DEP_1)
	v_mad_u32 v0, s0, s2, v0
	s_mov_b32 s0, exec_lo
	v_cmpx_gt_i64_e64 s[4:5], v[0:1]
	s_cbranch_execz .LBB70_2
; %bb.1:
	v_lshlrev_b64_e32 v[0:1], 3, v[0:1]
	s_delay_alu instid0(VALU_DEP_1)
	v_add_nc_u64_e32 v[2:3], s[10:11], v[0:1]
	v_add_nc_u64_e32 v[0:1], s[8:9], v[0:1]
	global_load_b64 v[2:3], v[2:3], off
	s_wait_loadcnt 0x0
	v_lshl_add_u64 v[2:3], v[2:3], 3, s[6:7]
	global_load_b64 v[2:3], v[2:3], off
	s_wait_loadcnt 0x0
	global_store_b64 v[0:1], v[2:3], off
.LBB70_2:
	s_endpgm
	.section	.rodata,"a",@progbits
	.p2align	6, 0x0
	.amdhsa_kernel _ZN9rocsparseL25kernel_get_permuted_arrayILj512EdlEEvT1_PKT0_PS2_PKS1_
		.amdhsa_group_segment_fixed_size 0
		.amdhsa_private_segment_fixed_size 0
		.amdhsa_kernarg_size 288
		.amdhsa_user_sgpr_count 2
		.amdhsa_user_sgpr_dispatch_ptr 0
		.amdhsa_user_sgpr_queue_ptr 0
		.amdhsa_user_sgpr_kernarg_segment_ptr 1
		.amdhsa_user_sgpr_dispatch_id 0
		.amdhsa_user_sgpr_kernarg_preload_length 0
		.amdhsa_user_sgpr_kernarg_preload_offset 0
		.amdhsa_user_sgpr_private_segment_size 0
		.amdhsa_wavefront_size32 1
		.amdhsa_uses_dynamic_stack 0
		.amdhsa_enable_private_segment 0
		.amdhsa_system_sgpr_workgroup_id_x 1
		.amdhsa_system_sgpr_workgroup_id_y 0
		.amdhsa_system_sgpr_workgroup_id_z 0
		.amdhsa_system_sgpr_workgroup_info 0
		.amdhsa_system_vgpr_workitem_id 0
		.amdhsa_next_free_vgpr 4
		.amdhsa_next_free_sgpr 13
		.amdhsa_named_barrier_count 0
		.amdhsa_reserve_vcc 0
		.amdhsa_float_round_mode_32 0
		.amdhsa_float_round_mode_16_64 0
		.amdhsa_float_denorm_mode_32 3
		.amdhsa_float_denorm_mode_16_64 3
		.amdhsa_fp16_overflow 0
		.amdhsa_memory_ordered 1
		.amdhsa_forward_progress 1
		.amdhsa_inst_pref_size 2
		.amdhsa_round_robin_scheduling 0
		.amdhsa_exception_fp_ieee_invalid_op 0
		.amdhsa_exception_fp_denorm_src 0
		.amdhsa_exception_fp_ieee_div_zero 0
		.amdhsa_exception_fp_ieee_overflow 0
		.amdhsa_exception_fp_ieee_underflow 0
		.amdhsa_exception_fp_ieee_inexact 0
		.amdhsa_exception_int_div_zero 0
	.end_amdhsa_kernel
	.section	.text._ZN9rocsparseL25kernel_get_permuted_arrayILj512EdlEEvT1_PKT0_PS2_PKS1_,"axG",@progbits,_ZN9rocsparseL25kernel_get_permuted_arrayILj512EdlEEvT1_PKT0_PS2_PKS1_,comdat
.Lfunc_end70:
	.size	_ZN9rocsparseL25kernel_get_permuted_arrayILj512EdlEEvT1_PKT0_PS2_PKS1_, .Lfunc_end70-_ZN9rocsparseL25kernel_get_permuted_arrayILj512EdlEEvT1_PKT0_PS2_PKS1_
                                        ; -- End function
	.set _ZN9rocsparseL25kernel_get_permuted_arrayILj512EdlEEvT1_PKT0_PS2_PKS1_.num_vgpr, 4
	.set _ZN9rocsparseL25kernel_get_permuted_arrayILj512EdlEEvT1_PKT0_PS2_PKS1_.num_agpr, 0
	.set _ZN9rocsparseL25kernel_get_permuted_arrayILj512EdlEEvT1_PKT0_PS2_PKS1_.numbered_sgpr, 13
	.set _ZN9rocsparseL25kernel_get_permuted_arrayILj512EdlEEvT1_PKT0_PS2_PKS1_.num_named_barrier, 0
	.set _ZN9rocsparseL25kernel_get_permuted_arrayILj512EdlEEvT1_PKT0_PS2_PKS1_.private_seg_size, 0
	.set _ZN9rocsparseL25kernel_get_permuted_arrayILj512EdlEEvT1_PKT0_PS2_PKS1_.uses_vcc, 0
	.set _ZN9rocsparseL25kernel_get_permuted_arrayILj512EdlEEvT1_PKT0_PS2_PKS1_.uses_flat_scratch, 0
	.set _ZN9rocsparseL25kernel_get_permuted_arrayILj512EdlEEvT1_PKT0_PS2_PKS1_.has_dyn_sized_stack, 0
	.set _ZN9rocsparseL25kernel_get_permuted_arrayILj512EdlEEvT1_PKT0_PS2_PKS1_.has_recursion, 0
	.set _ZN9rocsparseL25kernel_get_permuted_arrayILj512EdlEEvT1_PKT0_PS2_PKS1_.has_indirect_call, 0
	.section	.AMDGPU.csdata,"",@progbits
; Kernel info:
; codeLenInByte = 172
; TotalNumSgprs: 13
; NumVgprs: 4
; ScratchSize: 0
; MemoryBound: 0
; FloatMode: 240
; IeeeMode: 1
; LDSByteSize: 0 bytes/workgroup (compile time only)
; SGPRBlocks: 0
; VGPRBlocks: 0
; NumSGPRsForWavesPerEU: 13
; NumVGPRsForWavesPerEU: 4
; NamedBarCnt: 0
; Occupancy: 16
; WaveLimiterHint : 1
; COMPUTE_PGM_RSRC2:SCRATCH_EN: 0
; COMPUTE_PGM_RSRC2:USER_SGPR: 2
; COMPUTE_PGM_RSRC2:TRAP_HANDLER: 0
; COMPUTE_PGM_RSRC2:TGID_X_EN: 1
; COMPUTE_PGM_RSRC2:TGID_Y_EN: 0
; COMPUTE_PGM_RSRC2:TGID_Z_EN: 0
; COMPUTE_PGM_RSRC2:TIDIG_COMP_CNT: 0
	.section	.text._ZN9rocsparseL25kernel_set_permuted_arrayILj512EdlEEvT1_PT0_PKS2_PKS1_,"axG",@progbits,_ZN9rocsparseL25kernel_set_permuted_arrayILj512EdlEEvT1_PT0_PKS2_PKS1_,comdat
	.globl	_ZN9rocsparseL25kernel_set_permuted_arrayILj512EdlEEvT1_PT0_PKS2_PKS1_ ; -- Begin function _ZN9rocsparseL25kernel_set_permuted_arrayILj512EdlEEvT1_PT0_PKS2_PKS1_
	.p2align	8
	.type	_ZN9rocsparseL25kernel_set_permuted_arrayILj512EdlEEvT1_PT0_PKS2_PKS1_,@function
_ZN9rocsparseL25kernel_set_permuted_arrayILj512EdlEEvT1_PT0_PKS2_PKS1_: ; @_ZN9rocsparseL25kernel_set_permuted_arrayILj512EdlEEvT1_PT0_PKS2_PKS1_
; %bb.0:
	s_load_b32 s2, s[0:1], 0x2c
	s_bfe_u32 s12, ttmp6, 0x4000c
	s_load_b256 s[4:11], s[0:1], 0x0
	s_add_co_i32 s12, s12, 1
	s_and_b32 s3, ttmp6, 15
	s_wait_xcnt 0x0
	s_mul_i32 s1, ttmp9, s12
	s_getreg_b32 s0, hwreg(HW_REG_IB_STS2, 6, 4)
	s_add_co_i32 s3, s3, s1
	v_mov_b32_e32 v1, 0
	s_wait_kmcnt 0x0
	s_and_b32 s2, s2, 0xffff
	s_cmp_eq_u32 s0, 0
	s_cselect_b32 s0, ttmp9, s3
	s_delay_alu instid0(SALU_CYCLE_1) | instskip(SKIP_1) | instid1(VALU_DEP_1)
	v_mad_u32 v0, s0, s2, v0
	s_mov_b32 s0, exec_lo
	v_cmpx_gt_i64_e64 s[4:5], v[0:1]
	s_cbranch_execz .LBB71_2
; %bb.1:
	v_lshlrev_b64_e32 v[0:1], 3, v[0:1]
	s_delay_alu instid0(VALU_DEP_1)
	v_add_nc_u64_e32 v[2:3], s[10:11], v[0:1]
	v_add_nc_u64_e32 v[0:1], s[8:9], v[0:1]
	global_load_b64 v[4:5], v[2:3], off
	global_load_b64 v[6:7], v[0:1], off
	s_wait_loadcnt 0x1
	s_wait_xcnt 0x0
	v_lshl_add_u64 v[0:1], v[4:5], 3, s[6:7]
	s_wait_loadcnt 0x0
	global_store_b64 v[0:1], v[6:7], off
.LBB71_2:
	s_endpgm
	.section	.rodata,"a",@progbits
	.p2align	6, 0x0
	.amdhsa_kernel _ZN9rocsparseL25kernel_set_permuted_arrayILj512EdlEEvT1_PT0_PKS2_PKS1_
		.amdhsa_group_segment_fixed_size 0
		.amdhsa_private_segment_fixed_size 0
		.amdhsa_kernarg_size 288
		.amdhsa_user_sgpr_count 2
		.amdhsa_user_sgpr_dispatch_ptr 0
		.amdhsa_user_sgpr_queue_ptr 0
		.amdhsa_user_sgpr_kernarg_segment_ptr 1
		.amdhsa_user_sgpr_dispatch_id 0
		.amdhsa_user_sgpr_kernarg_preload_length 0
		.amdhsa_user_sgpr_kernarg_preload_offset 0
		.amdhsa_user_sgpr_private_segment_size 0
		.amdhsa_wavefront_size32 1
		.amdhsa_uses_dynamic_stack 0
		.amdhsa_enable_private_segment 0
		.amdhsa_system_sgpr_workgroup_id_x 1
		.amdhsa_system_sgpr_workgroup_id_y 0
		.amdhsa_system_sgpr_workgroup_id_z 0
		.amdhsa_system_sgpr_workgroup_info 0
		.amdhsa_system_vgpr_workitem_id 0
		.amdhsa_next_free_vgpr 8
		.amdhsa_next_free_sgpr 13
		.amdhsa_named_barrier_count 0
		.amdhsa_reserve_vcc 0
		.amdhsa_float_round_mode_32 0
		.amdhsa_float_round_mode_16_64 0
		.amdhsa_float_denorm_mode_32 3
		.amdhsa_float_denorm_mode_16_64 3
		.amdhsa_fp16_overflow 0
		.amdhsa_memory_ordered 1
		.amdhsa_forward_progress 1
		.amdhsa_inst_pref_size 2
		.amdhsa_round_robin_scheduling 0
		.amdhsa_exception_fp_ieee_invalid_op 0
		.amdhsa_exception_fp_denorm_src 0
		.amdhsa_exception_fp_ieee_div_zero 0
		.amdhsa_exception_fp_ieee_overflow 0
		.amdhsa_exception_fp_ieee_underflow 0
		.amdhsa_exception_fp_ieee_inexact 0
		.amdhsa_exception_int_div_zero 0
	.end_amdhsa_kernel
	.section	.text._ZN9rocsparseL25kernel_set_permuted_arrayILj512EdlEEvT1_PT0_PKS2_PKS1_,"axG",@progbits,_ZN9rocsparseL25kernel_set_permuted_arrayILj512EdlEEvT1_PT0_PKS2_PKS1_,comdat
.Lfunc_end71:
	.size	_ZN9rocsparseL25kernel_set_permuted_arrayILj512EdlEEvT1_PT0_PKS2_PKS1_, .Lfunc_end71-_ZN9rocsparseL25kernel_set_permuted_arrayILj512EdlEEvT1_PT0_PKS2_PKS1_
                                        ; -- End function
	.set _ZN9rocsparseL25kernel_set_permuted_arrayILj512EdlEEvT1_PT0_PKS2_PKS1_.num_vgpr, 8
	.set _ZN9rocsparseL25kernel_set_permuted_arrayILj512EdlEEvT1_PT0_PKS2_PKS1_.num_agpr, 0
	.set _ZN9rocsparseL25kernel_set_permuted_arrayILj512EdlEEvT1_PT0_PKS2_PKS1_.numbered_sgpr, 13
	.set _ZN9rocsparseL25kernel_set_permuted_arrayILj512EdlEEvT1_PT0_PKS2_PKS1_.num_named_barrier, 0
	.set _ZN9rocsparseL25kernel_set_permuted_arrayILj512EdlEEvT1_PT0_PKS2_PKS1_.private_seg_size, 0
	.set _ZN9rocsparseL25kernel_set_permuted_arrayILj512EdlEEvT1_PT0_PKS2_PKS1_.uses_vcc, 0
	.set _ZN9rocsparseL25kernel_set_permuted_arrayILj512EdlEEvT1_PT0_PKS2_PKS1_.uses_flat_scratch, 0
	.set _ZN9rocsparseL25kernel_set_permuted_arrayILj512EdlEEvT1_PT0_PKS2_PKS1_.has_dyn_sized_stack, 0
	.set _ZN9rocsparseL25kernel_set_permuted_arrayILj512EdlEEvT1_PT0_PKS2_PKS1_.has_recursion, 0
	.set _ZN9rocsparseL25kernel_set_permuted_arrayILj512EdlEEvT1_PT0_PKS2_PKS1_.has_indirect_call, 0
	.section	.AMDGPU.csdata,"",@progbits
; Kernel info:
; codeLenInByte = 176
; TotalNumSgprs: 13
; NumVgprs: 8
; ScratchSize: 0
; MemoryBound: 0
; FloatMode: 240
; IeeeMode: 1
; LDSByteSize: 0 bytes/workgroup (compile time only)
; SGPRBlocks: 0
; VGPRBlocks: 0
; NumSGPRsForWavesPerEU: 13
; NumVGPRsForWavesPerEU: 8
; NamedBarCnt: 0
; Occupancy: 16
; WaveLimiterHint : 1
; COMPUTE_PGM_RSRC2:SCRATCH_EN: 0
; COMPUTE_PGM_RSRC2:USER_SGPR: 2
; COMPUTE_PGM_RSRC2:TRAP_HANDLER: 0
; COMPUTE_PGM_RSRC2:TGID_X_EN: 1
; COMPUTE_PGM_RSRC2:TGID_Y_EN: 0
; COMPUTE_PGM_RSRC2:TGID_Z_EN: 0
; COMPUTE_PGM_RSRC2:TIDIG_COMP_CNT: 0
	.section	.text._ZN9rocsparseL25kernel_set_identity_arrayILj512E21rocsparse_complex_numIfElEEvT1_PT0_,"axG",@progbits,_ZN9rocsparseL25kernel_set_identity_arrayILj512E21rocsparse_complex_numIfElEEvT1_PT0_,comdat
	.globl	_ZN9rocsparseL25kernel_set_identity_arrayILj512E21rocsparse_complex_numIfElEEvT1_PT0_ ; -- Begin function _ZN9rocsparseL25kernel_set_identity_arrayILj512E21rocsparse_complex_numIfElEEvT1_PT0_
	.p2align	8
	.type	_ZN9rocsparseL25kernel_set_identity_arrayILj512E21rocsparse_complex_numIfElEEvT1_PT0_,@function
_ZN9rocsparseL25kernel_set_identity_arrayILj512E21rocsparse_complex_numIfElEEvT1_PT0_: ; @_ZN9rocsparseL25kernel_set_identity_arrayILj512E21rocsparse_complex_numIfElEEvT1_PT0_
; %bb.0:
	s_clause 0x1
	s_load_b32 s2, s[0:1], 0x1c
	s_load_b128 s[4:7], s[0:1], 0x0
	s_wait_xcnt 0x0
	s_bfe_u32 s0, ttmp6, 0x4000c
	s_and_b32 s1, ttmp6, 15
	s_add_co_i32 s0, s0, 1
	s_getreg_b32 s3, hwreg(HW_REG_IB_STS2, 6, 4)
	s_mul_i32 s0, ttmp9, s0
	v_mov_b32_e32 v1, 0
	s_add_co_i32 s1, s1, s0
	s_wait_kmcnt 0x0
	s_and_b32 s2, s2, 0xffff
	s_cmp_eq_u32 s3, 0
	s_cselect_b32 s0, ttmp9, s1
	s_delay_alu instid0(SALU_CYCLE_1) | instskip(SKIP_1) | instid1(VALU_DEP_1)
	v_mad_u32 v0, s0, s2, v0
	s_mov_b32 s0, exec_lo
	v_cmpx_gt_i64_e64 s[4:5], v[0:1]
	s_cbranch_execz .LBB72_2
; %bb.1:
	v_mov_b64_e32 v[2:3], 0x3f800000
	v_lshl_add_u64 v[0:1], v[0:1], 3, s[6:7]
	global_store_b64 v[0:1], v[2:3], off
.LBB72_2:
	s_endpgm
	.section	.rodata,"a",@progbits
	.p2align	6, 0x0
	.amdhsa_kernel _ZN9rocsparseL25kernel_set_identity_arrayILj512E21rocsparse_complex_numIfElEEvT1_PT0_
		.amdhsa_group_segment_fixed_size 0
		.amdhsa_private_segment_fixed_size 0
		.amdhsa_kernarg_size 272
		.amdhsa_user_sgpr_count 2
		.amdhsa_user_sgpr_dispatch_ptr 0
		.amdhsa_user_sgpr_queue_ptr 0
		.amdhsa_user_sgpr_kernarg_segment_ptr 1
		.amdhsa_user_sgpr_dispatch_id 0
		.amdhsa_user_sgpr_kernarg_preload_length 0
		.amdhsa_user_sgpr_kernarg_preload_offset 0
		.amdhsa_user_sgpr_private_segment_size 0
		.amdhsa_wavefront_size32 1
		.amdhsa_uses_dynamic_stack 0
		.amdhsa_enable_private_segment 0
		.amdhsa_system_sgpr_workgroup_id_x 1
		.amdhsa_system_sgpr_workgroup_id_y 0
		.amdhsa_system_sgpr_workgroup_id_z 0
		.amdhsa_system_sgpr_workgroup_info 0
		.amdhsa_system_vgpr_workitem_id 0
		.amdhsa_next_free_vgpr 4
		.amdhsa_next_free_sgpr 8
		.amdhsa_named_barrier_count 0
		.amdhsa_reserve_vcc 0
		.amdhsa_float_round_mode_32 0
		.amdhsa_float_round_mode_16_64 0
		.amdhsa_float_denorm_mode_32 3
		.amdhsa_float_denorm_mode_16_64 3
		.amdhsa_fp16_overflow 0
		.amdhsa_memory_ordered 1
		.amdhsa_forward_progress 1
		.amdhsa_inst_pref_size 2
		.amdhsa_round_robin_scheduling 0
		.amdhsa_exception_fp_ieee_invalid_op 0
		.amdhsa_exception_fp_denorm_src 0
		.amdhsa_exception_fp_ieee_div_zero 0
		.amdhsa_exception_fp_ieee_overflow 0
		.amdhsa_exception_fp_ieee_underflow 0
		.amdhsa_exception_fp_ieee_inexact 0
		.amdhsa_exception_int_div_zero 0
	.end_amdhsa_kernel
	.section	.text._ZN9rocsparseL25kernel_set_identity_arrayILj512E21rocsparse_complex_numIfElEEvT1_PT0_,"axG",@progbits,_ZN9rocsparseL25kernel_set_identity_arrayILj512E21rocsparse_complex_numIfElEEvT1_PT0_,comdat
.Lfunc_end72:
	.size	_ZN9rocsparseL25kernel_set_identity_arrayILj512E21rocsparse_complex_numIfElEEvT1_PT0_, .Lfunc_end72-_ZN9rocsparseL25kernel_set_identity_arrayILj512E21rocsparse_complex_numIfElEEvT1_PT0_
                                        ; -- End function
	.set _ZN9rocsparseL25kernel_set_identity_arrayILj512E21rocsparse_complex_numIfElEEvT1_PT0_.num_vgpr, 4
	.set _ZN9rocsparseL25kernel_set_identity_arrayILj512E21rocsparse_complex_numIfElEEvT1_PT0_.num_agpr, 0
	.set _ZN9rocsparseL25kernel_set_identity_arrayILj512E21rocsparse_complex_numIfElEEvT1_PT0_.numbered_sgpr, 8
	.set _ZN9rocsparseL25kernel_set_identity_arrayILj512E21rocsparse_complex_numIfElEEvT1_PT0_.num_named_barrier, 0
	.set _ZN9rocsparseL25kernel_set_identity_arrayILj512E21rocsparse_complex_numIfElEEvT1_PT0_.private_seg_size, 0
	.set _ZN9rocsparseL25kernel_set_identity_arrayILj512E21rocsparse_complex_numIfElEEvT1_PT0_.uses_vcc, 0
	.set _ZN9rocsparseL25kernel_set_identity_arrayILj512E21rocsparse_complex_numIfElEEvT1_PT0_.uses_flat_scratch, 0
	.set _ZN9rocsparseL25kernel_set_identity_arrayILj512E21rocsparse_complex_numIfElEEvT1_PT0_.has_dyn_sized_stack, 0
	.set _ZN9rocsparseL25kernel_set_identity_arrayILj512E21rocsparse_complex_numIfElEEvT1_PT0_.has_recursion, 0
	.set _ZN9rocsparseL25kernel_set_identity_arrayILj512E21rocsparse_complex_numIfElEEvT1_PT0_.has_indirect_call, 0
	.section	.AMDGPU.csdata,"",@progbits
; Kernel info:
; codeLenInByte = 136
; TotalNumSgprs: 8
; NumVgprs: 4
; ScratchSize: 0
; MemoryBound: 0
; FloatMode: 240
; IeeeMode: 1
; LDSByteSize: 0 bytes/workgroup (compile time only)
; SGPRBlocks: 0
; VGPRBlocks: 0
; NumSGPRsForWavesPerEU: 8
; NumVGPRsForWavesPerEU: 4
; NamedBarCnt: 0
; Occupancy: 16
; WaveLimiterHint : 0
; COMPUTE_PGM_RSRC2:SCRATCH_EN: 0
; COMPUTE_PGM_RSRC2:USER_SGPR: 2
; COMPUTE_PGM_RSRC2:TRAP_HANDLER: 0
; COMPUTE_PGM_RSRC2:TGID_X_EN: 1
; COMPUTE_PGM_RSRC2:TGID_Y_EN: 0
; COMPUTE_PGM_RSRC2:TGID_Z_EN: 0
; COMPUTE_PGM_RSRC2:TIDIG_COMP_CNT: 0
	.section	.text._ZN9rocsparseL25kernel_get_permuted_arrayILj512E21rocsparse_complex_numIfElEEvT1_PKT0_PS4_PKS3_,"axG",@progbits,_ZN9rocsparseL25kernel_get_permuted_arrayILj512E21rocsparse_complex_numIfElEEvT1_PKT0_PS4_PKS3_,comdat
	.globl	_ZN9rocsparseL25kernel_get_permuted_arrayILj512E21rocsparse_complex_numIfElEEvT1_PKT0_PS4_PKS3_ ; -- Begin function _ZN9rocsparseL25kernel_get_permuted_arrayILj512E21rocsparse_complex_numIfElEEvT1_PKT0_PS4_PKS3_
	.p2align	8
	.type	_ZN9rocsparseL25kernel_get_permuted_arrayILj512E21rocsparse_complex_numIfElEEvT1_PKT0_PS4_PKS3_,@function
_ZN9rocsparseL25kernel_get_permuted_arrayILj512E21rocsparse_complex_numIfElEEvT1_PKT0_PS4_PKS3_: ; @_ZN9rocsparseL25kernel_get_permuted_arrayILj512E21rocsparse_complex_numIfElEEvT1_PKT0_PS4_PKS3_
; %bb.0:
	s_load_b32 s2, s[0:1], 0x2c
	s_bfe_u32 s12, ttmp6, 0x4000c
	s_load_b256 s[4:11], s[0:1], 0x0
	s_add_co_i32 s12, s12, 1
	s_and_b32 s3, ttmp6, 15
	s_wait_xcnt 0x0
	s_mul_i32 s1, ttmp9, s12
	s_getreg_b32 s0, hwreg(HW_REG_IB_STS2, 6, 4)
	s_add_co_i32 s3, s3, s1
	v_mov_b32_e32 v1, 0
	s_wait_kmcnt 0x0
	s_and_b32 s2, s2, 0xffff
	s_cmp_eq_u32 s0, 0
	s_cselect_b32 s0, ttmp9, s3
	s_delay_alu instid0(SALU_CYCLE_1) | instskip(SKIP_1) | instid1(VALU_DEP_1)
	v_mad_u32 v0, s0, s2, v0
	s_mov_b32 s0, exec_lo
	v_cmpx_gt_i64_e64 s[4:5], v[0:1]
	s_cbranch_execz .LBB73_2
; %bb.1:
	v_lshlrev_b64_e32 v[0:1], 3, v[0:1]
	s_delay_alu instid0(VALU_DEP_1)
	v_add_nc_u64_e32 v[2:3], s[10:11], v[0:1]
	v_add_nc_u64_e32 v[0:1], s[8:9], v[0:1]
	global_load_b64 v[2:3], v[2:3], off
	s_wait_loadcnt 0x0
	v_lshl_add_u64 v[2:3], v[2:3], 3, s[6:7]
	global_load_b64 v[2:3], v[2:3], off
	s_wait_loadcnt 0x0
	global_store_b64 v[0:1], v[2:3], off
.LBB73_2:
	s_endpgm
	.section	.rodata,"a",@progbits
	.p2align	6, 0x0
	.amdhsa_kernel _ZN9rocsparseL25kernel_get_permuted_arrayILj512E21rocsparse_complex_numIfElEEvT1_PKT0_PS4_PKS3_
		.amdhsa_group_segment_fixed_size 0
		.amdhsa_private_segment_fixed_size 0
		.amdhsa_kernarg_size 288
		.amdhsa_user_sgpr_count 2
		.amdhsa_user_sgpr_dispatch_ptr 0
		.amdhsa_user_sgpr_queue_ptr 0
		.amdhsa_user_sgpr_kernarg_segment_ptr 1
		.amdhsa_user_sgpr_dispatch_id 0
		.amdhsa_user_sgpr_kernarg_preload_length 0
		.amdhsa_user_sgpr_kernarg_preload_offset 0
		.amdhsa_user_sgpr_private_segment_size 0
		.amdhsa_wavefront_size32 1
		.amdhsa_uses_dynamic_stack 0
		.amdhsa_enable_private_segment 0
		.amdhsa_system_sgpr_workgroup_id_x 1
		.amdhsa_system_sgpr_workgroup_id_y 0
		.amdhsa_system_sgpr_workgroup_id_z 0
		.amdhsa_system_sgpr_workgroup_info 0
		.amdhsa_system_vgpr_workitem_id 0
		.amdhsa_next_free_vgpr 4
		.amdhsa_next_free_sgpr 13
		.amdhsa_named_barrier_count 0
		.amdhsa_reserve_vcc 0
		.amdhsa_float_round_mode_32 0
		.amdhsa_float_round_mode_16_64 0
		.amdhsa_float_denorm_mode_32 3
		.amdhsa_float_denorm_mode_16_64 3
		.amdhsa_fp16_overflow 0
		.amdhsa_memory_ordered 1
		.amdhsa_forward_progress 1
		.amdhsa_inst_pref_size 2
		.amdhsa_round_robin_scheduling 0
		.amdhsa_exception_fp_ieee_invalid_op 0
		.amdhsa_exception_fp_denorm_src 0
		.amdhsa_exception_fp_ieee_div_zero 0
		.amdhsa_exception_fp_ieee_overflow 0
		.amdhsa_exception_fp_ieee_underflow 0
		.amdhsa_exception_fp_ieee_inexact 0
		.amdhsa_exception_int_div_zero 0
	.end_amdhsa_kernel
	.section	.text._ZN9rocsparseL25kernel_get_permuted_arrayILj512E21rocsparse_complex_numIfElEEvT1_PKT0_PS4_PKS3_,"axG",@progbits,_ZN9rocsparseL25kernel_get_permuted_arrayILj512E21rocsparse_complex_numIfElEEvT1_PKT0_PS4_PKS3_,comdat
.Lfunc_end73:
	.size	_ZN9rocsparseL25kernel_get_permuted_arrayILj512E21rocsparse_complex_numIfElEEvT1_PKT0_PS4_PKS3_, .Lfunc_end73-_ZN9rocsparseL25kernel_get_permuted_arrayILj512E21rocsparse_complex_numIfElEEvT1_PKT0_PS4_PKS3_
                                        ; -- End function
	.set _ZN9rocsparseL25kernel_get_permuted_arrayILj512E21rocsparse_complex_numIfElEEvT1_PKT0_PS4_PKS3_.num_vgpr, 4
	.set _ZN9rocsparseL25kernel_get_permuted_arrayILj512E21rocsparse_complex_numIfElEEvT1_PKT0_PS4_PKS3_.num_agpr, 0
	.set _ZN9rocsparseL25kernel_get_permuted_arrayILj512E21rocsparse_complex_numIfElEEvT1_PKT0_PS4_PKS3_.numbered_sgpr, 13
	.set _ZN9rocsparseL25kernel_get_permuted_arrayILj512E21rocsparse_complex_numIfElEEvT1_PKT0_PS4_PKS3_.num_named_barrier, 0
	.set _ZN9rocsparseL25kernel_get_permuted_arrayILj512E21rocsparse_complex_numIfElEEvT1_PKT0_PS4_PKS3_.private_seg_size, 0
	.set _ZN9rocsparseL25kernel_get_permuted_arrayILj512E21rocsparse_complex_numIfElEEvT1_PKT0_PS4_PKS3_.uses_vcc, 0
	.set _ZN9rocsparseL25kernel_get_permuted_arrayILj512E21rocsparse_complex_numIfElEEvT1_PKT0_PS4_PKS3_.uses_flat_scratch, 0
	.set _ZN9rocsparseL25kernel_get_permuted_arrayILj512E21rocsparse_complex_numIfElEEvT1_PKT0_PS4_PKS3_.has_dyn_sized_stack, 0
	.set _ZN9rocsparseL25kernel_get_permuted_arrayILj512E21rocsparse_complex_numIfElEEvT1_PKT0_PS4_PKS3_.has_recursion, 0
	.set _ZN9rocsparseL25kernel_get_permuted_arrayILj512E21rocsparse_complex_numIfElEEvT1_PKT0_PS4_PKS3_.has_indirect_call, 0
	.section	.AMDGPU.csdata,"",@progbits
; Kernel info:
; codeLenInByte = 172
; TotalNumSgprs: 13
; NumVgprs: 4
; ScratchSize: 0
; MemoryBound: 0
; FloatMode: 240
; IeeeMode: 1
; LDSByteSize: 0 bytes/workgroup (compile time only)
; SGPRBlocks: 0
; VGPRBlocks: 0
; NumSGPRsForWavesPerEU: 13
; NumVGPRsForWavesPerEU: 4
; NamedBarCnt: 0
; Occupancy: 16
; WaveLimiterHint : 1
; COMPUTE_PGM_RSRC2:SCRATCH_EN: 0
; COMPUTE_PGM_RSRC2:USER_SGPR: 2
; COMPUTE_PGM_RSRC2:TRAP_HANDLER: 0
; COMPUTE_PGM_RSRC2:TGID_X_EN: 1
; COMPUTE_PGM_RSRC2:TGID_Y_EN: 0
; COMPUTE_PGM_RSRC2:TGID_Z_EN: 0
; COMPUTE_PGM_RSRC2:TIDIG_COMP_CNT: 0
	.section	.text._ZN9rocsparseL25kernel_set_permuted_arrayILj512E21rocsparse_complex_numIfElEEvT1_PT0_PKS4_PKS3_,"axG",@progbits,_ZN9rocsparseL25kernel_set_permuted_arrayILj512E21rocsparse_complex_numIfElEEvT1_PT0_PKS4_PKS3_,comdat
	.globl	_ZN9rocsparseL25kernel_set_permuted_arrayILj512E21rocsparse_complex_numIfElEEvT1_PT0_PKS4_PKS3_ ; -- Begin function _ZN9rocsparseL25kernel_set_permuted_arrayILj512E21rocsparse_complex_numIfElEEvT1_PT0_PKS4_PKS3_
	.p2align	8
	.type	_ZN9rocsparseL25kernel_set_permuted_arrayILj512E21rocsparse_complex_numIfElEEvT1_PT0_PKS4_PKS3_,@function
_ZN9rocsparseL25kernel_set_permuted_arrayILj512E21rocsparse_complex_numIfElEEvT1_PT0_PKS4_PKS3_: ; @_ZN9rocsparseL25kernel_set_permuted_arrayILj512E21rocsparse_complex_numIfElEEvT1_PT0_PKS4_PKS3_
; %bb.0:
	s_load_b32 s2, s[0:1], 0x2c
	s_bfe_u32 s12, ttmp6, 0x4000c
	s_load_b256 s[4:11], s[0:1], 0x0
	s_add_co_i32 s12, s12, 1
	s_and_b32 s3, ttmp6, 15
	s_wait_xcnt 0x0
	s_mul_i32 s1, ttmp9, s12
	s_getreg_b32 s0, hwreg(HW_REG_IB_STS2, 6, 4)
	s_add_co_i32 s3, s3, s1
	v_mov_b32_e32 v1, 0
	s_wait_kmcnt 0x0
	s_and_b32 s2, s2, 0xffff
	s_cmp_eq_u32 s0, 0
	s_cselect_b32 s0, ttmp9, s3
	s_delay_alu instid0(SALU_CYCLE_1) | instskip(SKIP_1) | instid1(VALU_DEP_1)
	v_mad_u32 v0, s0, s2, v0
	s_mov_b32 s0, exec_lo
	v_cmpx_gt_i64_e64 s[4:5], v[0:1]
	s_cbranch_execz .LBB74_2
; %bb.1:
	v_lshlrev_b64_e32 v[0:1], 3, v[0:1]
	s_delay_alu instid0(VALU_DEP_1)
	v_add_nc_u64_e32 v[2:3], s[10:11], v[0:1]
	v_add_nc_u64_e32 v[0:1], s[8:9], v[0:1]
	global_load_b64 v[4:5], v[2:3], off
	global_load_b64 v[6:7], v[0:1], off
	s_wait_loadcnt 0x1
	s_wait_xcnt 0x0
	v_lshl_add_u64 v[0:1], v[4:5], 3, s[6:7]
	s_wait_loadcnt 0x0
	global_store_b64 v[0:1], v[6:7], off
.LBB74_2:
	s_endpgm
	.section	.rodata,"a",@progbits
	.p2align	6, 0x0
	.amdhsa_kernel _ZN9rocsparseL25kernel_set_permuted_arrayILj512E21rocsparse_complex_numIfElEEvT1_PT0_PKS4_PKS3_
		.amdhsa_group_segment_fixed_size 0
		.amdhsa_private_segment_fixed_size 0
		.amdhsa_kernarg_size 288
		.amdhsa_user_sgpr_count 2
		.amdhsa_user_sgpr_dispatch_ptr 0
		.amdhsa_user_sgpr_queue_ptr 0
		.amdhsa_user_sgpr_kernarg_segment_ptr 1
		.amdhsa_user_sgpr_dispatch_id 0
		.amdhsa_user_sgpr_kernarg_preload_length 0
		.amdhsa_user_sgpr_kernarg_preload_offset 0
		.amdhsa_user_sgpr_private_segment_size 0
		.amdhsa_wavefront_size32 1
		.amdhsa_uses_dynamic_stack 0
		.amdhsa_enable_private_segment 0
		.amdhsa_system_sgpr_workgroup_id_x 1
		.amdhsa_system_sgpr_workgroup_id_y 0
		.amdhsa_system_sgpr_workgroup_id_z 0
		.amdhsa_system_sgpr_workgroup_info 0
		.amdhsa_system_vgpr_workitem_id 0
		.amdhsa_next_free_vgpr 8
		.amdhsa_next_free_sgpr 13
		.amdhsa_named_barrier_count 0
		.amdhsa_reserve_vcc 0
		.amdhsa_float_round_mode_32 0
		.amdhsa_float_round_mode_16_64 0
		.amdhsa_float_denorm_mode_32 3
		.amdhsa_float_denorm_mode_16_64 3
		.amdhsa_fp16_overflow 0
		.amdhsa_memory_ordered 1
		.amdhsa_forward_progress 1
		.amdhsa_inst_pref_size 2
		.amdhsa_round_robin_scheduling 0
		.amdhsa_exception_fp_ieee_invalid_op 0
		.amdhsa_exception_fp_denorm_src 0
		.amdhsa_exception_fp_ieee_div_zero 0
		.amdhsa_exception_fp_ieee_overflow 0
		.amdhsa_exception_fp_ieee_underflow 0
		.amdhsa_exception_fp_ieee_inexact 0
		.amdhsa_exception_int_div_zero 0
	.end_amdhsa_kernel
	.section	.text._ZN9rocsparseL25kernel_set_permuted_arrayILj512E21rocsparse_complex_numIfElEEvT1_PT0_PKS4_PKS3_,"axG",@progbits,_ZN9rocsparseL25kernel_set_permuted_arrayILj512E21rocsparse_complex_numIfElEEvT1_PT0_PKS4_PKS3_,comdat
.Lfunc_end74:
	.size	_ZN9rocsparseL25kernel_set_permuted_arrayILj512E21rocsparse_complex_numIfElEEvT1_PT0_PKS4_PKS3_, .Lfunc_end74-_ZN9rocsparseL25kernel_set_permuted_arrayILj512E21rocsparse_complex_numIfElEEvT1_PT0_PKS4_PKS3_
                                        ; -- End function
	.set _ZN9rocsparseL25kernel_set_permuted_arrayILj512E21rocsparse_complex_numIfElEEvT1_PT0_PKS4_PKS3_.num_vgpr, 8
	.set _ZN9rocsparseL25kernel_set_permuted_arrayILj512E21rocsparse_complex_numIfElEEvT1_PT0_PKS4_PKS3_.num_agpr, 0
	.set _ZN9rocsparseL25kernel_set_permuted_arrayILj512E21rocsparse_complex_numIfElEEvT1_PT0_PKS4_PKS3_.numbered_sgpr, 13
	.set _ZN9rocsparseL25kernel_set_permuted_arrayILj512E21rocsparse_complex_numIfElEEvT1_PT0_PKS4_PKS3_.num_named_barrier, 0
	.set _ZN9rocsparseL25kernel_set_permuted_arrayILj512E21rocsparse_complex_numIfElEEvT1_PT0_PKS4_PKS3_.private_seg_size, 0
	.set _ZN9rocsparseL25kernel_set_permuted_arrayILj512E21rocsparse_complex_numIfElEEvT1_PT0_PKS4_PKS3_.uses_vcc, 0
	.set _ZN9rocsparseL25kernel_set_permuted_arrayILj512E21rocsparse_complex_numIfElEEvT1_PT0_PKS4_PKS3_.uses_flat_scratch, 0
	.set _ZN9rocsparseL25kernel_set_permuted_arrayILj512E21rocsparse_complex_numIfElEEvT1_PT0_PKS4_PKS3_.has_dyn_sized_stack, 0
	.set _ZN9rocsparseL25kernel_set_permuted_arrayILj512E21rocsparse_complex_numIfElEEvT1_PT0_PKS4_PKS3_.has_recursion, 0
	.set _ZN9rocsparseL25kernel_set_permuted_arrayILj512E21rocsparse_complex_numIfElEEvT1_PT0_PKS4_PKS3_.has_indirect_call, 0
	.section	.AMDGPU.csdata,"",@progbits
; Kernel info:
; codeLenInByte = 176
; TotalNumSgprs: 13
; NumVgprs: 8
; ScratchSize: 0
; MemoryBound: 0
; FloatMode: 240
; IeeeMode: 1
; LDSByteSize: 0 bytes/workgroup (compile time only)
; SGPRBlocks: 0
; VGPRBlocks: 0
; NumSGPRsForWavesPerEU: 13
; NumVGPRsForWavesPerEU: 8
; NamedBarCnt: 0
; Occupancy: 16
; WaveLimiterHint : 1
; COMPUTE_PGM_RSRC2:SCRATCH_EN: 0
; COMPUTE_PGM_RSRC2:USER_SGPR: 2
; COMPUTE_PGM_RSRC2:TRAP_HANDLER: 0
; COMPUTE_PGM_RSRC2:TGID_X_EN: 1
; COMPUTE_PGM_RSRC2:TGID_Y_EN: 0
; COMPUTE_PGM_RSRC2:TGID_Z_EN: 0
; COMPUTE_PGM_RSRC2:TIDIG_COMP_CNT: 0
	.section	.text._ZN9rocsparseL25kernel_set_identity_arrayILj512E21rocsparse_complex_numIdElEEvT1_PT0_,"axG",@progbits,_ZN9rocsparseL25kernel_set_identity_arrayILj512E21rocsparse_complex_numIdElEEvT1_PT0_,comdat
	.globl	_ZN9rocsparseL25kernel_set_identity_arrayILj512E21rocsparse_complex_numIdElEEvT1_PT0_ ; -- Begin function _ZN9rocsparseL25kernel_set_identity_arrayILj512E21rocsparse_complex_numIdElEEvT1_PT0_
	.p2align	8
	.type	_ZN9rocsparseL25kernel_set_identity_arrayILj512E21rocsparse_complex_numIdElEEvT1_PT0_,@function
_ZN9rocsparseL25kernel_set_identity_arrayILj512E21rocsparse_complex_numIdElEEvT1_PT0_: ; @_ZN9rocsparseL25kernel_set_identity_arrayILj512E21rocsparse_complex_numIdElEEvT1_PT0_
; %bb.0:
	s_clause 0x1
	s_load_b32 s2, s[0:1], 0x1c
	s_load_b128 s[4:7], s[0:1], 0x0
	s_wait_xcnt 0x0
	s_bfe_u32 s0, ttmp6, 0x4000c
	s_and_b32 s1, ttmp6, 15
	s_add_co_i32 s0, s0, 1
	s_getreg_b32 s3, hwreg(HW_REG_IB_STS2, 6, 4)
	s_mul_i32 s0, ttmp9, s0
	v_mov_b32_e32 v3, 0
	s_add_co_i32 s1, s1, s0
	s_wait_kmcnt 0x0
	s_and_b32 s2, s2, 0xffff
	s_cmp_eq_u32 s3, 0
	s_cselect_b32 s0, ttmp9, s1
	s_delay_alu instid0(SALU_CYCLE_1) | instskip(SKIP_1) | instid1(VALU_DEP_1)
	v_mad_u32 v2, s0, s2, v0
	s_mov_b32 s0, exec_lo
	v_cmpx_gt_i64_e64 s[4:5], v[2:3]
	s_cbranch_execz .LBB75_2
; %bb.1:
	v_lshl_add_u64 v[4:5], v[2:3], 4, s[6:7]
	v_dual_mov_b32 v1, 0x3ff00000 :: v_dual_mov_b32 v0, v3
	v_mov_b32_e32 v2, v3
	global_store_b128 v[4:5], v[0:3], off
.LBB75_2:
	s_endpgm
	.section	.rodata,"a",@progbits
	.p2align	6, 0x0
	.amdhsa_kernel _ZN9rocsparseL25kernel_set_identity_arrayILj512E21rocsparse_complex_numIdElEEvT1_PT0_
		.amdhsa_group_segment_fixed_size 0
		.amdhsa_private_segment_fixed_size 0
		.amdhsa_kernarg_size 272
		.amdhsa_user_sgpr_count 2
		.amdhsa_user_sgpr_dispatch_ptr 0
		.amdhsa_user_sgpr_queue_ptr 0
		.amdhsa_user_sgpr_kernarg_segment_ptr 1
		.amdhsa_user_sgpr_dispatch_id 0
		.amdhsa_user_sgpr_kernarg_preload_length 0
		.amdhsa_user_sgpr_kernarg_preload_offset 0
		.amdhsa_user_sgpr_private_segment_size 0
		.amdhsa_wavefront_size32 1
		.amdhsa_uses_dynamic_stack 0
		.amdhsa_enable_private_segment 0
		.amdhsa_system_sgpr_workgroup_id_x 1
		.amdhsa_system_sgpr_workgroup_id_y 0
		.amdhsa_system_sgpr_workgroup_id_z 0
		.amdhsa_system_sgpr_workgroup_info 0
		.amdhsa_system_vgpr_workitem_id 0
		.amdhsa_next_free_vgpr 6
		.amdhsa_next_free_sgpr 8
		.amdhsa_named_barrier_count 0
		.amdhsa_reserve_vcc 0
		.amdhsa_float_round_mode_32 0
		.amdhsa_float_round_mode_16_64 0
		.amdhsa_float_denorm_mode_32 3
		.amdhsa_float_denorm_mode_16_64 3
		.amdhsa_fp16_overflow 0
		.amdhsa_memory_ordered 1
		.amdhsa_forward_progress 1
		.amdhsa_inst_pref_size 2
		.amdhsa_round_robin_scheduling 0
		.amdhsa_exception_fp_ieee_invalid_op 0
		.amdhsa_exception_fp_denorm_src 0
		.amdhsa_exception_fp_ieee_div_zero 0
		.amdhsa_exception_fp_ieee_overflow 0
		.amdhsa_exception_fp_ieee_underflow 0
		.amdhsa_exception_fp_ieee_inexact 0
		.amdhsa_exception_int_div_zero 0
	.end_amdhsa_kernel
	.section	.text._ZN9rocsparseL25kernel_set_identity_arrayILj512E21rocsparse_complex_numIdElEEvT1_PT0_,"axG",@progbits,_ZN9rocsparseL25kernel_set_identity_arrayILj512E21rocsparse_complex_numIdElEEvT1_PT0_,comdat
.Lfunc_end75:
	.size	_ZN9rocsparseL25kernel_set_identity_arrayILj512E21rocsparse_complex_numIdElEEvT1_PT0_, .Lfunc_end75-_ZN9rocsparseL25kernel_set_identity_arrayILj512E21rocsparse_complex_numIdElEEvT1_PT0_
                                        ; -- End function
	.set _ZN9rocsparseL25kernel_set_identity_arrayILj512E21rocsparse_complex_numIdElEEvT1_PT0_.num_vgpr, 6
	.set _ZN9rocsparseL25kernel_set_identity_arrayILj512E21rocsparse_complex_numIdElEEvT1_PT0_.num_agpr, 0
	.set _ZN9rocsparseL25kernel_set_identity_arrayILj512E21rocsparse_complex_numIdElEEvT1_PT0_.numbered_sgpr, 8
	.set _ZN9rocsparseL25kernel_set_identity_arrayILj512E21rocsparse_complex_numIdElEEvT1_PT0_.num_named_barrier, 0
	.set _ZN9rocsparseL25kernel_set_identity_arrayILj512E21rocsparse_complex_numIdElEEvT1_PT0_.private_seg_size, 0
	.set _ZN9rocsparseL25kernel_set_identity_arrayILj512E21rocsparse_complex_numIdElEEvT1_PT0_.uses_vcc, 0
	.set _ZN9rocsparseL25kernel_set_identity_arrayILj512E21rocsparse_complex_numIdElEEvT1_PT0_.uses_flat_scratch, 0
	.set _ZN9rocsparseL25kernel_set_identity_arrayILj512E21rocsparse_complex_numIdElEEvT1_PT0_.has_dyn_sized_stack, 0
	.set _ZN9rocsparseL25kernel_set_identity_arrayILj512E21rocsparse_complex_numIdElEEvT1_PT0_.has_recursion, 0
	.set _ZN9rocsparseL25kernel_set_identity_arrayILj512E21rocsparse_complex_numIdElEEvT1_PT0_.has_indirect_call, 0
	.section	.AMDGPU.csdata,"",@progbits
; Kernel info:
; codeLenInByte = 144
; TotalNumSgprs: 8
; NumVgprs: 6
; ScratchSize: 0
; MemoryBound: 0
; FloatMode: 240
; IeeeMode: 1
; LDSByteSize: 0 bytes/workgroup (compile time only)
; SGPRBlocks: 0
; VGPRBlocks: 0
; NumSGPRsForWavesPerEU: 8
; NumVGPRsForWavesPerEU: 6
; NamedBarCnt: 0
; Occupancy: 16
; WaveLimiterHint : 0
; COMPUTE_PGM_RSRC2:SCRATCH_EN: 0
; COMPUTE_PGM_RSRC2:USER_SGPR: 2
; COMPUTE_PGM_RSRC2:TRAP_HANDLER: 0
; COMPUTE_PGM_RSRC2:TGID_X_EN: 1
; COMPUTE_PGM_RSRC2:TGID_Y_EN: 0
; COMPUTE_PGM_RSRC2:TGID_Z_EN: 0
; COMPUTE_PGM_RSRC2:TIDIG_COMP_CNT: 0
	.section	.text._ZN9rocsparseL25kernel_get_permuted_arrayILj512E21rocsparse_complex_numIdElEEvT1_PKT0_PS4_PKS3_,"axG",@progbits,_ZN9rocsparseL25kernel_get_permuted_arrayILj512E21rocsparse_complex_numIdElEEvT1_PKT0_PS4_PKS3_,comdat
	.globl	_ZN9rocsparseL25kernel_get_permuted_arrayILj512E21rocsparse_complex_numIdElEEvT1_PKT0_PS4_PKS3_ ; -- Begin function _ZN9rocsparseL25kernel_get_permuted_arrayILj512E21rocsparse_complex_numIdElEEvT1_PKT0_PS4_PKS3_
	.p2align	8
	.type	_ZN9rocsparseL25kernel_get_permuted_arrayILj512E21rocsparse_complex_numIdElEEvT1_PKT0_PS4_PKS3_,@function
_ZN9rocsparseL25kernel_get_permuted_arrayILj512E21rocsparse_complex_numIdElEEvT1_PKT0_PS4_PKS3_: ; @_ZN9rocsparseL25kernel_get_permuted_arrayILj512E21rocsparse_complex_numIdElEEvT1_PKT0_PS4_PKS3_
; %bb.0:
	s_load_b32 s2, s[0:1], 0x2c
	s_bfe_u32 s12, ttmp6, 0x4000c
	s_load_b256 s[4:11], s[0:1], 0x0
	s_add_co_i32 s12, s12, 1
	s_and_b32 s3, ttmp6, 15
	s_wait_xcnt 0x0
	s_mul_i32 s1, ttmp9, s12
	s_getreg_b32 s0, hwreg(HW_REG_IB_STS2, 6, 4)
	s_add_co_i32 s3, s3, s1
	v_mov_b32_e32 v1, 0
	s_wait_kmcnt 0x0
	s_and_b32 s2, s2, 0xffff
	s_cmp_eq_u32 s0, 0
	s_cselect_b32 s0, ttmp9, s3
	s_delay_alu instid0(SALU_CYCLE_1) | instskip(SKIP_1) | instid1(VALU_DEP_1)
	v_mad_u32 v0, s0, s2, v0
	s_mov_b32 s0, exec_lo
	v_cmpx_gt_i64_e64 s[4:5], v[0:1]
	s_cbranch_execz .LBB76_2
; %bb.1:
	v_lshl_add_u64 v[2:3], v[0:1], 3, s[10:11]
	v_lshl_add_u64 v[0:1], v[0:1], 4, s[8:9]
	global_load_b64 v[2:3], v[2:3], off
	s_wait_loadcnt 0x0
	v_lshl_add_u64 v[2:3], v[2:3], 4, s[6:7]
	global_load_b128 v[2:5], v[2:3], off
	s_wait_loadcnt 0x0
	global_store_b128 v[0:1], v[2:5], off
.LBB76_2:
	s_endpgm
	.section	.rodata,"a",@progbits
	.p2align	6, 0x0
	.amdhsa_kernel _ZN9rocsparseL25kernel_get_permuted_arrayILj512E21rocsparse_complex_numIdElEEvT1_PKT0_PS4_PKS3_
		.amdhsa_group_segment_fixed_size 0
		.amdhsa_private_segment_fixed_size 0
		.amdhsa_kernarg_size 288
		.amdhsa_user_sgpr_count 2
		.amdhsa_user_sgpr_dispatch_ptr 0
		.amdhsa_user_sgpr_queue_ptr 0
		.amdhsa_user_sgpr_kernarg_segment_ptr 1
		.amdhsa_user_sgpr_dispatch_id 0
		.amdhsa_user_sgpr_kernarg_preload_length 0
		.amdhsa_user_sgpr_kernarg_preload_offset 0
		.amdhsa_user_sgpr_private_segment_size 0
		.amdhsa_wavefront_size32 1
		.amdhsa_uses_dynamic_stack 0
		.amdhsa_enable_private_segment 0
		.amdhsa_system_sgpr_workgroup_id_x 1
		.amdhsa_system_sgpr_workgroup_id_y 0
		.amdhsa_system_sgpr_workgroup_id_z 0
		.amdhsa_system_sgpr_workgroup_info 0
		.amdhsa_system_vgpr_workitem_id 0
		.amdhsa_next_free_vgpr 6
		.amdhsa_next_free_sgpr 13
		.amdhsa_named_barrier_count 0
		.amdhsa_reserve_vcc 0
		.amdhsa_float_round_mode_32 0
		.amdhsa_float_round_mode_16_64 0
		.amdhsa_float_denorm_mode_32 3
		.amdhsa_float_denorm_mode_16_64 3
		.amdhsa_fp16_overflow 0
		.amdhsa_memory_ordered 1
		.amdhsa_forward_progress 1
		.amdhsa_inst_pref_size 2
		.amdhsa_round_robin_scheduling 0
		.amdhsa_exception_fp_ieee_invalid_op 0
		.amdhsa_exception_fp_denorm_src 0
		.amdhsa_exception_fp_ieee_div_zero 0
		.amdhsa_exception_fp_ieee_overflow 0
		.amdhsa_exception_fp_ieee_underflow 0
		.amdhsa_exception_fp_ieee_inexact 0
		.amdhsa_exception_int_div_zero 0
	.end_amdhsa_kernel
	.section	.text._ZN9rocsparseL25kernel_get_permuted_arrayILj512E21rocsparse_complex_numIdElEEvT1_PKT0_PS4_PKS3_,"axG",@progbits,_ZN9rocsparseL25kernel_get_permuted_arrayILj512E21rocsparse_complex_numIdElEEvT1_PKT0_PS4_PKS3_,comdat
.Lfunc_end76:
	.size	_ZN9rocsparseL25kernel_get_permuted_arrayILj512E21rocsparse_complex_numIdElEEvT1_PKT0_PS4_PKS3_, .Lfunc_end76-_ZN9rocsparseL25kernel_get_permuted_arrayILj512E21rocsparse_complex_numIdElEEvT1_PKT0_PS4_PKS3_
                                        ; -- End function
	.set _ZN9rocsparseL25kernel_get_permuted_arrayILj512E21rocsparse_complex_numIdElEEvT1_PKT0_PS4_PKS3_.num_vgpr, 6
	.set _ZN9rocsparseL25kernel_get_permuted_arrayILj512E21rocsparse_complex_numIdElEEvT1_PKT0_PS4_PKS3_.num_agpr, 0
	.set _ZN9rocsparseL25kernel_get_permuted_arrayILj512E21rocsparse_complex_numIdElEEvT1_PKT0_PS4_PKS3_.numbered_sgpr, 13
	.set _ZN9rocsparseL25kernel_get_permuted_arrayILj512E21rocsparse_complex_numIdElEEvT1_PKT0_PS4_PKS3_.num_named_barrier, 0
	.set _ZN9rocsparseL25kernel_get_permuted_arrayILj512E21rocsparse_complex_numIdElEEvT1_PKT0_PS4_PKS3_.private_seg_size, 0
	.set _ZN9rocsparseL25kernel_get_permuted_arrayILj512E21rocsparse_complex_numIdElEEvT1_PKT0_PS4_PKS3_.uses_vcc, 0
	.set _ZN9rocsparseL25kernel_get_permuted_arrayILj512E21rocsparse_complex_numIdElEEvT1_PKT0_PS4_PKS3_.uses_flat_scratch, 0
	.set _ZN9rocsparseL25kernel_get_permuted_arrayILj512E21rocsparse_complex_numIdElEEvT1_PKT0_PS4_PKS3_.has_dyn_sized_stack, 0
	.set _ZN9rocsparseL25kernel_get_permuted_arrayILj512E21rocsparse_complex_numIdElEEvT1_PKT0_PS4_PKS3_.has_recursion, 0
	.set _ZN9rocsparseL25kernel_get_permuted_arrayILj512E21rocsparse_complex_numIdElEEvT1_PKT0_PS4_PKS3_.has_indirect_call, 0
	.section	.AMDGPU.csdata,"",@progbits
; Kernel info:
; codeLenInByte = 172
; TotalNumSgprs: 13
; NumVgprs: 6
; ScratchSize: 0
; MemoryBound: 0
; FloatMode: 240
; IeeeMode: 1
; LDSByteSize: 0 bytes/workgroup (compile time only)
; SGPRBlocks: 0
; VGPRBlocks: 0
; NumSGPRsForWavesPerEU: 13
; NumVGPRsForWavesPerEU: 6
; NamedBarCnt: 0
; Occupancy: 16
; WaveLimiterHint : 0
; COMPUTE_PGM_RSRC2:SCRATCH_EN: 0
; COMPUTE_PGM_RSRC2:USER_SGPR: 2
; COMPUTE_PGM_RSRC2:TRAP_HANDLER: 0
; COMPUTE_PGM_RSRC2:TGID_X_EN: 1
; COMPUTE_PGM_RSRC2:TGID_Y_EN: 0
; COMPUTE_PGM_RSRC2:TGID_Z_EN: 0
; COMPUTE_PGM_RSRC2:TIDIG_COMP_CNT: 0
	.section	.text._ZN9rocsparseL25kernel_set_permuted_arrayILj512E21rocsparse_complex_numIdElEEvT1_PT0_PKS4_PKS3_,"axG",@progbits,_ZN9rocsparseL25kernel_set_permuted_arrayILj512E21rocsparse_complex_numIdElEEvT1_PT0_PKS4_PKS3_,comdat
	.globl	_ZN9rocsparseL25kernel_set_permuted_arrayILj512E21rocsparse_complex_numIdElEEvT1_PT0_PKS4_PKS3_ ; -- Begin function _ZN9rocsparseL25kernel_set_permuted_arrayILj512E21rocsparse_complex_numIdElEEvT1_PT0_PKS4_PKS3_
	.p2align	8
	.type	_ZN9rocsparseL25kernel_set_permuted_arrayILj512E21rocsparse_complex_numIdElEEvT1_PT0_PKS4_PKS3_,@function
_ZN9rocsparseL25kernel_set_permuted_arrayILj512E21rocsparse_complex_numIdElEEvT1_PT0_PKS4_PKS3_: ; @_ZN9rocsparseL25kernel_set_permuted_arrayILj512E21rocsparse_complex_numIdElEEvT1_PT0_PKS4_PKS3_
; %bb.0:
	s_load_b32 s2, s[0:1], 0x2c
	s_bfe_u32 s12, ttmp6, 0x4000c
	s_load_b256 s[4:11], s[0:1], 0x0
	s_add_co_i32 s12, s12, 1
	s_and_b32 s3, ttmp6, 15
	s_wait_xcnt 0x0
	s_mul_i32 s1, ttmp9, s12
	s_getreg_b32 s0, hwreg(HW_REG_IB_STS2, 6, 4)
	s_add_co_i32 s3, s3, s1
	v_mov_b32_e32 v1, 0
	s_wait_kmcnt 0x0
	s_and_b32 s2, s2, 0xffff
	s_cmp_eq_u32 s0, 0
	s_cselect_b32 s0, ttmp9, s3
	s_delay_alu instid0(SALU_CYCLE_1) | instskip(SKIP_1) | instid1(VALU_DEP_1)
	v_mad_u32 v0, s0, s2, v0
	s_mov_b32 s0, exec_lo
	v_cmpx_gt_i64_e64 s[4:5], v[0:1]
	s_cbranch_execz .LBB77_2
; %bb.1:
	v_lshl_add_u64 v[4:5], v[0:1], 3, s[10:11]
	v_lshl_add_u64 v[6:7], v[0:1], 4, s[8:9]
	global_load_b64 v[8:9], v[4:5], off
	global_load_b128 v[0:3], v[6:7], off
	s_wait_loadcnt 0x1
	s_wait_xcnt 0x1
	v_lshl_add_u64 v[4:5], v[8:9], 4, s[6:7]
	s_wait_loadcnt 0x0
	global_store_b128 v[4:5], v[0:3], off
.LBB77_2:
	s_endpgm
	.section	.rodata,"a",@progbits
	.p2align	6, 0x0
	.amdhsa_kernel _ZN9rocsparseL25kernel_set_permuted_arrayILj512E21rocsparse_complex_numIdElEEvT1_PT0_PKS4_PKS3_
		.amdhsa_group_segment_fixed_size 0
		.amdhsa_private_segment_fixed_size 0
		.amdhsa_kernarg_size 288
		.amdhsa_user_sgpr_count 2
		.amdhsa_user_sgpr_dispatch_ptr 0
		.amdhsa_user_sgpr_queue_ptr 0
		.amdhsa_user_sgpr_kernarg_segment_ptr 1
		.amdhsa_user_sgpr_dispatch_id 0
		.amdhsa_user_sgpr_kernarg_preload_length 0
		.amdhsa_user_sgpr_kernarg_preload_offset 0
		.amdhsa_user_sgpr_private_segment_size 0
		.amdhsa_wavefront_size32 1
		.amdhsa_uses_dynamic_stack 0
		.amdhsa_enable_private_segment 0
		.amdhsa_system_sgpr_workgroup_id_x 1
		.amdhsa_system_sgpr_workgroup_id_y 0
		.amdhsa_system_sgpr_workgroup_id_z 0
		.amdhsa_system_sgpr_workgroup_info 0
		.amdhsa_system_vgpr_workitem_id 0
		.amdhsa_next_free_vgpr 10
		.amdhsa_next_free_sgpr 13
		.amdhsa_named_barrier_count 0
		.amdhsa_reserve_vcc 0
		.amdhsa_float_round_mode_32 0
		.amdhsa_float_round_mode_16_64 0
		.amdhsa_float_denorm_mode_32 3
		.amdhsa_float_denorm_mode_16_64 3
		.amdhsa_fp16_overflow 0
		.amdhsa_memory_ordered 1
		.amdhsa_forward_progress 1
		.amdhsa_inst_pref_size 2
		.amdhsa_round_robin_scheduling 0
		.amdhsa_exception_fp_ieee_invalid_op 0
		.amdhsa_exception_fp_denorm_src 0
		.amdhsa_exception_fp_ieee_div_zero 0
		.amdhsa_exception_fp_ieee_overflow 0
		.amdhsa_exception_fp_ieee_underflow 0
		.amdhsa_exception_fp_ieee_inexact 0
		.amdhsa_exception_int_div_zero 0
	.end_amdhsa_kernel
	.section	.text._ZN9rocsparseL25kernel_set_permuted_arrayILj512E21rocsparse_complex_numIdElEEvT1_PT0_PKS4_PKS3_,"axG",@progbits,_ZN9rocsparseL25kernel_set_permuted_arrayILj512E21rocsparse_complex_numIdElEEvT1_PT0_PKS4_PKS3_,comdat
.Lfunc_end77:
	.size	_ZN9rocsparseL25kernel_set_permuted_arrayILj512E21rocsparse_complex_numIdElEEvT1_PT0_PKS4_PKS3_, .Lfunc_end77-_ZN9rocsparseL25kernel_set_permuted_arrayILj512E21rocsparse_complex_numIdElEEvT1_PT0_PKS4_PKS3_
                                        ; -- End function
	.set _ZN9rocsparseL25kernel_set_permuted_arrayILj512E21rocsparse_complex_numIdElEEvT1_PT0_PKS4_PKS3_.num_vgpr, 10
	.set _ZN9rocsparseL25kernel_set_permuted_arrayILj512E21rocsparse_complex_numIdElEEvT1_PT0_PKS4_PKS3_.num_agpr, 0
	.set _ZN9rocsparseL25kernel_set_permuted_arrayILj512E21rocsparse_complex_numIdElEEvT1_PT0_PKS4_PKS3_.numbered_sgpr, 13
	.set _ZN9rocsparseL25kernel_set_permuted_arrayILj512E21rocsparse_complex_numIdElEEvT1_PT0_PKS4_PKS3_.num_named_barrier, 0
	.set _ZN9rocsparseL25kernel_set_permuted_arrayILj512E21rocsparse_complex_numIdElEEvT1_PT0_PKS4_PKS3_.private_seg_size, 0
	.set _ZN9rocsparseL25kernel_set_permuted_arrayILj512E21rocsparse_complex_numIdElEEvT1_PT0_PKS4_PKS3_.uses_vcc, 0
	.set _ZN9rocsparseL25kernel_set_permuted_arrayILj512E21rocsparse_complex_numIdElEEvT1_PT0_PKS4_PKS3_.uses_flat_scratch, 0
	.set _ZN9rocsparseL25kernel_set_permuted_arrayILj512E21rocsparse_complex_numIdElEEvT1_PT0_PKS4_PKS3_.has_dyn_sized_stack, 0
	.set _ZN9rocsparseL25kernel_set_permuted_arrayILj512E21rocsparse_complex_numIdElEEvT1_PT0_PKS4_PKS3_.has_recursion, 0
	.set _ZN9rocsparseL25kernel_set_permuted_arrayILj512E21rocsparse_complex_numIdElEEvT1_PT0_PKS4_PKS3_.has_indirect_call, 0
	.section	.AMDGPU.csdata,"",@progbits
; Kernel info:
; codeLenInByte = 176
; TotalNumSgprs: 13
; NumVgprs: 10
; ScratchSize: 0
; MemoryBound: 0
; FloatMode: 240
; IeeeMode: 1
; LDSByteSize: 0 bytes/workgroup (compile time only)
; SGPRBlocks: 0
; VGPRBlocks: 0
; NumSGPRsForWavesPerEU: 13
; NumVGPRsForWavesPerEU: 10
; NamedBarCnt: 0
; Occupancy: 16
; WaveLimiterHint : 1
; COMPUTE_PGM_RSRC2:SCRATCH_EN: 0
; COMPUTE_PGM_RSRC2:USER_SGPR: 2
; COMPUTE_PGM_RSRC2:TRAP_HANDLER: 0
; COMPUTE_PGM_RSRC2:TGID_X_EN: 1
; COMPUTE_PGM_RSRC2:TGID_Y_EN: 0
; COMPUTE_PGM_RSRC2:TGID_Z_EN: 0
; COMPUTE_PGM_RSRC2:TIDIG_COMP_CNT: 0
	.section	.text._ZN9rocsparseL18kernel_nrminf_diffILj1024EfEEvmPKT0_S3_PNS_15floating_traitsIS1_E6data_tEPKS6_,"axG",@progbits,_ZN9rocsparseL18kernel_nrminf_diffILj1024EfEEvmPKT0_S3_PNS_15floating_traitsIS1_E6data_tEPKS6_,comdat
	.globl	_ZN9rocsparseL18kernel_nrminf_diffILj1024EfEEvmPKT0_S3_PNS_15floating_traitsIS1_E6data_tEPKS6_ ; -- Begin function _ZN9rocsparseL18kernel_nrminf_diffILj1024EfEEvmPKT0_S3_PNS_15floating_traitsIS1_E6data_tEPKS6_
	.p2align	8
	.type	_ZN9rocsparseL18kernel_nrminf_diffILj1024EfEEvmPKT0_S3_PNS_15floating_traitsIS1_E6data_tEPKS6_,@function
_ZN9rocsparseL18kernel_nrminf_diffILj1024EfEEvmPKT0_S3_PNS_15floating_traitsIS1_E6data_tEPKS6_: ; @_ZN9rocsparseL18kernel_nrminf_diffILj1024EfEEvmPKT0_S3_PNS_15floating_traitsIS1_E6data_tEPKS6_
; %bb.0:
	s_load_b64 s[2:3], s[0:1], 0x0
	s_bfe_u32 s4, ttmp6, 0x4000c
	s_and_b32 s5, ttmp6, 15
	s_add_co_i32 s4, s4, 1
	s_getreg_b32 s6, hwreg(HW_REG_IB_STS2, 6, 4)
	s_mul_i32 s4, ttmp9, s4
	v_mov_b32_e32 v3, 0
	s_add_co_i32 s5, s5, s4
	s_cmp_eq_u32 s6, 0
	s_cselect_b32 s4, ttmp9, s5
	s_delay_alu instid0(SALU_CYCLE_1) | instskip(SKIP_1) | instid1(VALU_DEP_1)
	v_lshl_or_b32 v2, s4, 10, v0
	s_wait_kmcnt 0x0
	v_cmp_gt_u64_e32 vcc_lo, s[2:3], v[2:3]
	s_and_saveexec_b32 s2, vcc_lo
	s_cbranch_execz .LBB78_2
; %bb.1:
	s_load_b128 s[4:7], s[0:1], 0x8
	v_lshlrev_b64_e32 v[2:3], 2, v[2:3]
	s_wait_kmcnt 0x0
	s_delay_alu instid0(VALU_DEP_1)
	v_add_nc_u64_e32 v[4:5], s[4:5], v[2:3]
	v_add_nc_u64_e32 v[2:3], s[6:7], v[2:3]
	global_load_b32 v1, v[4:5], off
	global_load_b32 v6, v[2:3], off
	s_wait_loadcnt 0x0
	v_sub_f32_e32 v1, v1, v6
	s_delay_alu instid0(VALU_DEP_1)
	v_and_b32_e32 v3, 0x7fffffff, v1
.LBB78_2:
	s_or_b32 exec_lo, exec_lo, s2
	v_lshlrev_b32_e32 v1, 2, v0
	s_mov_b32 s2, exec_lo
	ds_store_b32 v1, v3
	s_wait_dscnt 0x0
	s_barrier_signal -1
	s_barrier_wait -1
	v_cmpx_gt_u32_e32 0x200, v0
	s_cbranch_execz .LBB78_4
; %bb.3:
	ds_load_2addr_stride64_b32 v[2:3], v1 offset1:8
	s_wait_dscnt 0x0
	v_cmp_lt_f32_e32 vcc_lo, v2, v3
	v_cndmask_b32_e32 v2, v2, v3, vcc_lo
	ds_store_b32 v1, v2
.LBB78_4:
	s_or_b32 exec_lo, exec_lo, s2
	s_delay_alu instid0(SALU_CYCLE_1)
	s_mov_b32 s2, exec_lo
	s_wait_dscnt 0x0
	s_barrier_signal -1
	s_barrier_wait -1
	v_cmpx_gt_u32_e32 0x100, v0
	s_cbranch_execz .LBB78_6
; %bb.5:
	ds_load_2addr_stride64_b32 v[2:3], v1 offset1:4
	s_wait_dscnt 0x0
	v_cmp_lt_f32_e32 vcc_lo, v2, v3
	v_cndmask_b32_e32 v2, v2, v3, vcc_lo
	ds_store_b32 v1, v2
.LBB78_6:
	s_or_b32 exec_lo, exec_lo, s2
	s_delay_alu instid0(SALU_CYCLE_1)
	s_mov_b32 s2, exec_lo
	;; [unrolled: 15-line block ×4, first 2 shown]
	s_wait_dscnt 0x0
	s_barrier_signal -1
	s_barrier_wait -1
	v_cmpx_gt_u32_e32 32, v0
	s_cbranch_execz .LBB78_12
; %bb.11:
	ds_load_2addr_b32 v[2:3], v1 offset1:32
	s_wait_dscnt 0x0
	v_cmp_lt_f32_e32 vcc_lo, v2, v3
	v_cndmask_b32_e32 v2, v2, v3, vcc_lo
	ds_store_b32 v1, v2
.LBB78_12:
	s_or_b32 exec_lo, exec_lo, s2
	s_delay_alu instid0(SALU_CYCLE_1)
	s_mov_b32 s2, exec_lo
	s_wait_dscnt 0x0
	s_barrier_signal -1
	s_barrier_wait -1
	v_cmpx_gt_u32_e32 16, v0
	s_cbranch_execz .LBB78_14
; %bb.13:
	ds_load_2addr_b32 v[2:3], v1 offset1:16
	s_wait_dscnt 0x0
	v_cmp_lt_f32_e32 vcc_lo, v2, v3
	v_cndmask_b32_e32 v2, v2, v3, vcc_lo
	ds_store_b32 v1, v2
.LBB78_14:
	s_or_b32 exec_lo, exec_lo, s2
	s_delay_alu instid0(SALU_CYCLE_1)
	s_mov_b32 s2, exec_lo
	s_wait_dscnt 0x0
	s_barrier_signal -1
	s_barrier_wait -1
	v_cmpx_gt_u32_e32 8, v0
	s_cbranch_execz .LBB78_16
; %bb.15:
	ds_load_2addr_b32 v[2:3], v1 offset1:8
	s_wait_dscnt 0x0
	v_cmp_lt_f32_e32 vcc_lo, v2, v3
	v_cndmask_b32_e32 v2, v2, v3, vcc_lo
	ds_store_b32 v1, v2
.LBB78_16:
	s_or_b32 exec_lo, exec_lo, s2
	s_delay_alu instid0(SALU_CYCLE_1)
	s_mov_b32 s2, exec_lo
	s_wait_dscnt 0x0
	s_barrier_signal -1
	s_barrier_wait -1
	v_cmpx_gt_u32_e32 4, v0
	s_cbranch_execz .LBB78_18
; %bb.17:
	ds_load_2addr_b32 v[2:3], v1 offset1:4
	s_wait_dscnt 0x0
	v_cmp_lt_f32_e32 vcc_lo, v2, v3
	v_cndmask_b32_e32 v2, v2, v3, vcc_lo
	ds_store_b32 v1, v2
.LBB78_18:
	s_or_b32 exec_lo, exec_lo, s2
	s_delay_alu instid0(SALU_CYCLE_1)
	s_mov_b32 s2, exec_lo
	s_wait_dscnt 0x0
	s_barrier_signal -1
	s_barrier_wait -1
	v_cmpx_gt_u32_e32 2, v0
	s_cbranch_execz .LBB78_20
; %bb.19:
	ds_load_2addr_b32 v[2:3], v1 offset1:2
	s_wait_dscnt 0x0
	v_cmp_lt_f32_e32 vcc_lo, v2, v3
	v_cndmask_b32_e32 v2, v2, v3, vcc_lo
	ds_store_b32 v1, v2
.LBB78_20:
	s_or_b32 exec_lo, exec_lo, s2
	v_cmp_eq_u32_e32 vcc_lo, 0, v0
	s_wait_dscnt 0x0
	s_barrier_signal -1
	s_barrier_wait -1
	s_and_saveexec_b32 s3, vcc_lo
	s_cbranch_execz .LBB78_22
; %bb.21:
	v_mov_b32_e32 v2, 0
	ds_load_b64 v[0:1], v2
	s_wait_dscnt 0x0
	v_cmp_lt_f32_e64 s2, v0, v1
	s_delay_alu instid0(VALU_DEP_1)
	v_cndmask_b32_e64 v0, v0, v1, s2
	ds_store_b32 v2, v0
.LBB78_22:
	s_or_b32 exec_lo, exec_lo, s3
	s_wait_dscnt 0x0
	s_barrier_signal -1
	s_barrier_wait -1
	s_and_saveexec_b32 s2, vcc_lo
	s_cbranch_execz .LBB78_27
; %bb.23:
	v_mov_b32_e32 v0, 0
	s_load_b64 s[2:3], s[0:1], 0x20
	ds_load_b32 v0, v0
	s_wait_kmcnt 0x0
	s_cmp_eq_u64 s[2:3], 0
	s_cbranch_scc1 .LBB78_25
; %bb.24:
	s_load_b32 s2, s[2:3], 0x0
	s_wait_dscnt 0x0
	s_wait_kmcnt 0x0
	v_div_scale_f32 v1, null, s2, s2, v0
	s_delay_alu instid0(VALU_DEP_1)
	v_rcp_f32_e32 v2, v1
	v_nop
	v_xor_b32_e32 v1, 0x80000000, v1
	s_delay_alu instid0(TRANS32_DEP_1) | instid1(VALU_DEP_1)
	v_fma_f32 v3, v1, v2, 1.0
	s_delay_alu instid0(VALU_DEP_1) | instskip(SKIP_1) | instid1(VALU_DEP_1)
	v_fmac_f32_e32 v2, v3, v2
	v_div_scale_f32 v3, vcc_lo, v0, s2, v0
	v_mul_f32_e32 v4, v3, v2
	s_delay_alu instid0(VALU_DEP_1) | instskip(NEXT) | instid1(VALU_DEP_1)
	v_fma_f32 v5, v1, v4, v3
	v_fmac_f32_e32 v4, v5, v2
	s_delay_alu instid0(VALU_DEP_1) | instskip(NEXT) | instid1(VALU_DEP_1)
	v_fmac_f32_e32 v3, v1, v4
	v_div_fmas_f32 v1, v3, v2, v4
	s_delay_alu instid0(VALU_DEP_1)
	v_div_fixup_f32 v0, v1, s2, v0
.LBB78_25:
	v_mbcnt_lo_u32_b32 v1, exec_lo, 0
	s_delay_alu instid0(VALU_DEP_1)
	v_cmp_eq_u32_e32 vcc_lo, 0, v1
	s_and_b32 exec_lo, exec_lo, vcc_lo
	s_cbranch_execz .LBB78_27
; %bb.26:
	s_load_b64 s[0:1], s[0:1], 0x18
	v_mov_b32_e32 v1, 0
	s_wait_xcnt 0x0
	s_wait_dscnt 0x0
	s_wait_kmcnt 0x0
	global_atomic_max_num_f32 v1, v0, s[0:1] scope:SCOPE_DEV
.LBB78_27:
	s_endpgm
	.section	.rodata,"a",@progbits
	.p2align	6, 0x0
	.amdhsa_kernel _ZN9rocsparseL18kernel_nrminf_diffILj1024EfEEvmPKT0_S3_PNS_15floating_traitsIS1_E6data_tEPKS6_
		.amdhsa_group_segment_fixed_size 4096
		.amdhsa_private_segment_fixed_size 0
		.amdhsa_kernarg_size 40
		.amdhsa_user_sgpr_count 2
		.amdhsa_user_sgpr_dispatch_ptr 0
		.amdhsa_user_sgpr_queue_ptr 0
		.amdhsa_user_sgpr_kernarg_segment_ptr 1
		.amdhsa_user_sgpr_dispatch_id 0
		.amdhsa_user_sgpr_kernarg_preload_length 0
		.amdhsa_user_sgpr_kernarg_preload_offset 0
		.amdhsa_user_sgpr_private_segment_size 0
		.amdhsa_wavefront_size32 1
		.amdhsa_uses_dynamic_stack 0
		.amdhsa_enable_private_segment 0
		.amdhsa_system_sgpr_workgroup_id_x 1
		.amdhsa_system_sgpr_workgroup_id_y 0
		.amdhsa_system_sgpr_workgroup_id_z 0
		.amdhsa_system_sgpr_workgroup_info 0
		.amdhsa_system_vgpr_workitem_id 0
		.amdhsa_next_free_vgpr 7
		.amdhsa_next_free_sgpr 8
		.amdhsa_named_barrier_count 0
		.amdhsa_reserve_vcc 1
		.amdhsa_float_round_mode_32 0
		.amdhsa_float_round_mode_16_64 0
		.amdhsa_float_denorm_mode_32 3
		.amdhsa_float_denorm_mode_16_64 3
		.amdhsa_fp16_overflow 0
		.amdhsa_memory_ordered 1
		.amdhsa_forward_progress 1
		.amdhsa_inst_pref_size 8
		.amdhsa_round_robin_scheduling 0
		.amdhsa_exception_fp_ieee_invalid_op 0
		.amdhsa_exception_fp_denorm_src 0
		.amdhsa_exception_fp_ieee_div_zero 0
		.amdhsa_exception_fp_ieee_overflow 0
		.amdhsa_exception_fp_ieee_underflow 0
		.amdhsa_exception_fp_ieee_inexact 0
		.amdhsa_exception_int_div_zero 0
	.end_amdhsa_kernel
	.section	.text._ZN9rocsparseL18kernel_nrminf_diffILj1024EfEEvmPKT0_S3_PNS_15floating_traitsIS1_E6data_tEPKS6_,"axG",@progbits,_ZN9rocsparseL18kernel_nrminf_diffILj1024EfEEvmPKT0_S3_PNS_15floating_traitsIS1_E6data_tEPKS6_,comdat
.Lfunc_end78:
	.size	_ZN9rocsparseL18kernel_nrminf_diffILj1024EfEEvmPKT0_S3_PNS_15floating_traitsIS1_E6data_tEPKS6_, .Lfunc_end78-_ZN9rocsparseL18kernel_nrminf_diffILj1024EfEEvmPKT0_S3_PNS_15floating_traitsIS1_E6data_tEPKS6_
                                        ; -- End function
	.set _ZN9rocsparseL18kernel_nrminf_diffILj1024EfEEvmPKT0_S3_PNS_15floating_traitsIS1_E6data_tEPKS6_.num_vgpr, 7
	.set _ZN9rocsparseL18kernel_nrminf_diffILj1024EfEEvmPKT0_S3_PNS_15floating_traitsIS1_E6data_tEPKS6_.num_agpr, 0
	.set _ZN9rocsparseL18kernel_nrminf_diffILj1024EfEEvmPKT0_S3_PNS_15floating_traitsIS1_E6data_tEPKS6_.numbered_sgpr, 8
	.set _ZN9rocsparseL18kernel_nrminf_diffILj1024EfEEvmPKT0_S3_PNS_15floating_traitsIS1_E6data_tEPKS6_.num_named_barrier, 0
	.set _ZN9rocsparseL18kernel_nrminf_diffILj1024EfEEvmPKT0_S3_PNS_15floating_traitsIS1_E6data_tEPKS6_.private_seg_size, 0
	.set _ZN9rocsparseL18kernel_nrminf_diffILj1024EfEEvmPKT0_S3_PNS_15floating_traitsIS1_E6data_tEPKS6_.uses_vcc, 1
	.set _ZN9rocsparseL18kernel_nrminf_diffILj1024EfEEvmPKT0_S3_PNS_15floating_traitsIS1_E6data_tEPKS6_.uses_flat_scratch, 0
	.set _ZN9rocsparseL18kernel_nrminf_diffILj1024EfEEvmPKT0_S3_PNS_15floating_traitsIS1_E6data_tEPKS6_.has_dyn_sized_stack, 0
	.set _ZN9rocsparseL18kernel_nrminf_diffILj1024EfEEvmPKT0_S3_PNS_15floating_traitsIS1_E6data_tEPKS6_.has_recursion, 0
	.set _ZN9rocsparseL18kernel_nrminf_diffILj1024EfEEvmPKT0_S3_PNS_15floating_traitsIS1_E6data_tEPKS6_.has_indirect_call, 0
	.section	.AMDGPU.csdata,"",@progbits
; Kernel info:
; codeLenInByte = 1020
; TotalNumSgprs: 10
; NumVgprs: 7
; ScratchSize: 0
; MemoryBound: 0
; FloatMode: 240
; IeeeMode: 1
; LDSByteSize: 4096 bytes/workgroup (compile time only)
; SGPRBlocks: 0
; VGPRBlocks: 0
; NumSGPRsForWavesPerEU: 10
; NumVGPRsForWavesPerEU: 7
; NamedBarCnt: 0
; Occupancy: 16
; WaveLimiterHint : 0
; COMPUTE_PGM_RSRC2:SCRATCH_EN: 0
; COMPUTE_PGM_RSRC2:USER_SGPR: 2
; COMPUTE_PGM_RSRC2:TRAP_HANDLER: 0
; COMPUTE_PGM_RSRC2:TGID_X_EN: 1
; COMPUTE_PGM_RSRC2:TGID_Y_EN: 0
; COMPUTE_PGM_RSRC2:TGID_Z_EN: 0
; COMPUTE_PGM_RSRC2:TIDIG_COMP_CNT: 0
	.section	.text._ZN9rocsparseL13kernel_nrminfILj1024EfEEvmPKT0_PNS_15floating_traitsIS1_E6data_tEPKS6_,"axG",@progbits,_ZN9rocsparseL13kernel_nrminfILj1024EfEEvmPKT0_PNS_15floating_traitsIS1_E6data_tEPKS6_,comdat
	.globl	_ZN9rocsparseL13kernel_nrminfILj1024EfEEvmPKT0_PNS_15floating_traitsIS1_E6data_tEPKS6_ ; -- Begin function _ZN9rocsparseL13kernel_nrminfILj1024EfEEvmPKT0_PNS_15floating_traitsIS1_E6data_tEPKS6_
	.p2align	8
	.type	_ZN9rocsparseL13kernel_nrminfILj1024EfEEvmPKT0_PNS_15floating_traitsIS1_E6data_tEPKS6_,@function
_ZN9rocsparseL13kernel_nrminfILj1024EfEEvmPKT0_PNS_15floating_traitsIS1_E6data_tEPKS6_: ; @_ZN9rocsparseL13kernel_nrminfILj1024EfEEvmPKT0_PNS_15floating_traitsIS1_E6data_tEPKS6_
; %bb.0:
	s_load_b64 s[2:3], s[0:1], 0x0
	s_bfe_u32 s4, ttmp6, 0x4000c
	s_and_b32 s5, ttmp6, 15
	s_add_co_i32 s4, s4, 1
	s_getreg_b32 s6, hwreg(HW_REG_IB_STS2, 6, 4)
	s_mul_i32 s4, ttmp9, s4
	v_mov_b32_e32 v3, 0
	s_add_co_i32 s5, s5, s4
	s_cmp_eq_u32 s6, 0
	s_cselect_b32 s4, ttmp9, s5
	s_delay_alu instid0(SALU_CYCLE_1) | instskip(SKIP_1) | instid1(VALU_DEP_1)
	v_lshl_or_b32 v2, s4, 10, v0
	s_wait_kmcnt 0x0
	v_cmp_gt_u64_e32 vcc_lo, s[2:3], v[2:3]
	s_and_saveexec_b32 s2, vcc_lo
	s_cbranch_execz .LBB79_2
; %bb.1:
	s_load_b64 s[4:5], s[0:1], 0x8
	s_wait_kmcnt 0x0
	v_lshl_add_u64 v[2:3], v[2:3], 2, s[4:5]
	global_load_b32 v1, v[2:3], off
	s_wait_loadcnt 0x0
	v_and_b32_e32 v3, 0x7fffffff, v1
.LBB79_2:
	s_or_b32 exec_lo, exec_lo, s2
	v_lshlrev_b32_e32 v1, 2, v0
	s_mov_b32 s2, exec_lo
	ds_store_b32 v1, v3
	s_wait_dscnt 0x0
	s_barrier_signal -1
	s_barrier_wait -1
	v_cmpx_gt_u32_e32 0x200, v0
	s_cbranch_execz .LBB79_4
; %bb.3:
	ds_load_2addr_stride64_b32 v[2:3], v1 offset1:8
	s_wait_dscnt 0x0
	v_cmp_lt_f32_e32 vcc_lo, v2, v3
	v_cndmask_b32_e32 v2, v2, v3, vcc_lo
	ds_store_b32 v1, v2
.LBB79_4:
	s_or_b32 exec_lo, exec_lo, s2
	s_delay_alu instid0(SALU_CYCLE_1)
	s_mov_b32 s2, exec_lo
	s_wait_dscnt 0x0
	s_barrier_signal -1
	s_barrier_wait -1
	v_cmpx_gt_u32_e32 0x100, v0
	s_cbranch_execz .LBB79_6
; %bb.5:
	ds_load_2addr_stride64_b32 v[2:3], v1 offset1:4
	s_wait_dscnt 0x0
	v_cmp_lt_f32_e32 vcc_lo, v2, v3
	v_cndmask_b32_e32 v2, v2, v3, vcc_lo
	ds_store_b32 v1, v2
.LBB79_6:
	s_or_b32 exec_lo, exec_lo, s2
	s_delay_alu instid0(SALU_CYCLE_1)
	s_mov_b32 s2, exec_lo
	;; [unrolled: 15-line block ×4, first 2 shown]
	s_wait_dscnt 0x0
	s_barrier_signal -1
	s_barrier_wait -1
	v_cmpx_gt_u32_e32 32, v0
	s_cbranch_execz .LBB79_12
; %bb.11:
	ds_load_2addr_b32 v[2:3], v1 offset1:32
	s_wait_dscnt 0x0
	v_cmp_lt_f32_e32 vcc_lo, v2, v3
	v_cndmask_b32_e32 v2, v2, v3, vcc_lo
	ds_store_b32 v1, v2
.LBB79_12:
	s_or_b32 exec_lo, exec_lo, s2
	s_delay_alu instid0(SALU_CYCLE_1)
	s_mov_b32 s2, exec_lo
	s_wait_dscnt 0x0
	s_barrier_signal -1
	s_barrier_wait -1
	v_cmpx_gt_u32_e32 16, v0
	s_cbranch_execz .LBB79_14
; %bb.13:
	ds_load_2addr_b32 v[2:3], v1 offset1:16
	s_wait_dscnt 0x0
	v_cmp_lt_f32_e32 vcc_lo, v2, v3
	v_cndmask_b32_e32 v2, v2, v3, vcc_lo
	ds_store_b32 v1, v2
.LBB79_14:
	s_or_b32 exec_lo, exec_lo, s2
	s_delay_alu instid0(SALU_CYCLE_1)
	s_mov_b32 s2, exec_lo
	;; [unrolled: 15-line block ×4, first 2 shown]
	s_wait_dscnt 0x0
	s_barrier_signal -1
	s_barrier_wait -1
	v_cmpx_gt_u32_e32 2, v0
	s_cbranch_execz .LBB79_20
; %bb.19:
	ds_load_2addr_b32 v[2:3], v1 offset1:2
	s_wait_dscnt 0x0
	v_cmp_lt_f32_e32 vcc_lo, v2, v3
	v_cndmask_b32_e32 v2, v2, v3, vcc_lo
	ds_store_b32 v1, v2
.LBB79_20:
	s_or_b32 exec_lo, exec_lo, s2
	v_cmp_eq_u32_e32 vcc_lo, 0, v0
	s_wait_dscnt 0x0
	s_barrier_signal -1
	s_barrier_wait -1
	s_and_saveexec_b32 s3, vcc_lo
	s_cbranch_execz .LBB79_22
; %bb.21:
	v_mov_b32_e32 v2, 0
	ds_load_b64 v[0:1], v2
	s_wait_dscnt 0x0
	v_cmp_lt_f32_e64 s2, v0, v1
	s_delay_alu instid0(VALU_DEP_1)
	v_cndmask_b32_e64 v0, v0, v1, s2
	ds_store_b32 v2, v0
.LBB79_22:
	s_or_b32 exec_lo, exec_lo, s3
	s_wait_dscnt 0x0
	s_barrier_signal -1
	s_barrier_wait -1
	s_and_saveexec_b32 s2, vcc_lo
	s_cbranch_execz .LBB79_27
; %bb.23:
	v_mov_b32_e32 v0, 0
	s_load_b64 s[2:3], s[0:1], 0x18
	ds_load_b32 v0, v0
	s_wait_kmcnt 0x0
	s_cmp_eq_u64 s[2:3], 0
	s_cbranch_scc1 .LBB79_25
; %bb.24:
	s_load_b32 s2, s[2:3], 0x0
	s_wait_dscnt 0x0
	s_wait_kmcnt 0x0
	v_div_scale_f32 v1, null, s2, s2, v0
	s_delay_alu instid0(VALU_DEP_1)
	v_rcp_f32_e32 v2, v1
	v_nop
	v_xor_b32_e32 v1, 0x80000000, v1
	s_delay_alu instid0(TRANS32_DEP_1) | instid1(VALU_DEP_1)
	v_fma_f32 v3, v1, v2, 1.0
	s_delay_alu instid0(VALU_DEP_1) | instskip(SKIP_1) | instid1(VALU_DEP_1)
	v_fmac_f32_e32 v2, v3, v2
	v_div_scale_f32 v3, vcc_lo, v0, s2, v0
	v_mul_f32_e32 v4, v3, v2
	s_delay_alu instid0(VALU_DEP_1) | instskip(NEXT) | instid1(VALU_DEP_1)
	v_fma_f32 v5, v1, v4, v3
	v_fmac_f32_e32 v4, v5, v2
	s_delay_alu instid0(VALU_DEP_1) | instskip(NEXT) | instid1(VALU_DEP_1)
	v_fmac_f32_e32 v3, v1, v4
	v_div_fmas_f32 v1, v3, v2, v4
	s_delay_alu instid0(VALU_DEP_1)
	v_div_fixup_f32 v0, v1, s2, v0
.LBB79_25:
	v_mbcnt_lo_u32_b32 v1, exec_lo, 0
	s_delay_alu instid0(VALU_DEP_1)
	v_cmp_eq_u32_e32 vcc_lo, 0, v1
	s_and_b32 exec_lo, exec_lo, vcc_lo
	s_cbranch_execz .LBB79_27
; %bb.26:
	s_load_b64 s[0:1], s[0:1], 0x10
	v_mov_b32_e32 v1, 0
	s_wait_xcnt 0x0
	s_wait_dscnt 0x0
	s_wait_kmcnt 0x0
	global_atomic_max_num_f32 v1, v0, s[0:1] scope:SCOPE_DEV
.LBB79_27:
	s_endpgm
	.section	.rodata,"a",@progbits
	.p2align	6, 0x0
	.amdhsa_kernel _ZN9rocsparseL13kernel_nrminfILj1024EfEEvmPKT0_PNS_15floating_traitsIS1_E6data_tEPKS6_
		.amdhsa_group_segment_fixed_size 4096
		.amdhsa_private_segment_fixed_size 0
		.amdhsa_kernarg_size 32
		.amdhsa_user_sgpr_count 2
		.amdhsa_user_sgpr_dispatch_ptr 0
		.amdhsa_user_sgpr_queue_ptr 0
		.amdhsa_user_sgpr_kernarg_segment_ptr 1
		.amdhsa_user_sgpr_dispatch_id 0
		.amdhsa_user_sgpr_kernarg_preload_length 0
		.amdhsa_user_sgpr_kernarg_preload_offset 0
		.amdhsa_user_sgpr_private_segment_size 0
		.amdhsa_wavefront_size32 1
		.amdhsa_uses_dynamic_stack 0
		.amdhsa_enable_private_segment 0
		.amdhsa_system_sgpr_workgroup_id_x 1
		.amdhsa_system_sgpr_workgroup_id_y 0
		.amdhsa_system_sgpr_workgroup_id_z 0
		.amdhsa_system_sgpr_workgroup_info 0
		.amdhsa_system_vgpr_workitem_id 0
		.amdhsa_next_free_vgpr 6
		.amdhsa_next_free_sgpr 7
		.amdhsa_named_barrier_count 0
		.amdhsa_reserve_vcc 1
		.amdhsa_float_round_mode_32 0
		.amdhsa_float_round_mode_16_64 0
		.amdhsa_float_denorm_mode_32 3
		.amdhsa_float_denorm_mode_16_64 3
		.amdhsa_fp16_overflow 0
		.amdhsa_memory_ordered 1
		.amdhsa_forward_progress 1
		.amdhsa_inst_pref_size 8
		.amdhsa_round_robin_scheduling 0
		.amdhsa_exception_fp_ieee_invalid_op 0
		.amdhsa_exception_fp_denorm_src 0
		.amdhsa_exception_fp_ieee_div_zero 0
		.amdhsa_exception_fp_ieee_overflow 0
		.amdhsa_exception_fp_ieee_underflow 0
		.amdhsa_exception_fp_ieee_inexact 0
		.amdhsa_exception_int_div_zero 0
	.end_amdhsa_kernel
	.section	.text._ZN9rocsparseL13kernel_nrminfILj1024EfEEvmPKT0_PNS_15floating_traitsIS1_E6data_tEPKS6_,"axG",@progbits,_ZN9rocsparseL13kernel_nrminfILj1024EfEEvmPKT0_PNS_15floating_traitsIS1_E6data_tEPKS6_,comdat
.Lfunc_end79:
	.size	_ZN9rocsparseL13kernel_nrminfILj1024EfEEvmPKT0_PNS_15floating_traitsIS1_E6data_tEPKS6_, .Lfunc_end79-_ZN9rocsparseL13kernel_nrminfILj1024EfEEvmPKT0_PNS_15floating_traitsIS1_E6data_tEPKS6_
                                        ; -- End function
	.set _ZN9rocsparseL13kernel_nrminfILj1024EfEEvmPKT0_PNS_15floating_traitsIS1_E6data_tEPKS6_.num_vgpr, 6
	.set _ZN9rocsparseL13kernel_nrminfILj1024EfEEvmPKT0_PNS_15floating_traitsIS1_E6data_tEPKS6_.num_agpr, 0
	.set _ZN9rocsparseL13kernel_nrminfILj1024EfEEvmPKT0_PNS_15floating_traitsIS1_E6data_tEPKS6_.numbered_sgpr, 7
	.set _ZN9rocsparseL13kernel_nrminfILj1024EfEEvmPKT0_PNS_15floating_traitsIS1_E6data_tEPKS6_.num_named_barrier, 0
	.set _ZN9rocsparseL13kernel_nrminfILj1024EfEEvmPKT0_PNS_15floating_traitsIS1_E6data_tEPKS6_.private_seg_size, 0
	.set _ZN9rocsparseL13kernel_nrminfILj1024EfEEvmPKT0_PNS_15floating_traitsIS1_E6data_tEPKS6_.uses_vcc, 1
	.set _ZN9rocsparseL13kernel_nrminfILj1024EfEEvmPKT0_PNS_15floating_traitsIS1_E6data_tEPKS6_.uses_flat_scratch, 0
	.set _ZN9rocsparseL13kernel_nrminfILj1024EfEEvmPKT0_PNS_15floating_traitsIS1_E6data_tEPKS6_.has_dyn_sized_stack, 0
	.set _ZN9rocsparseL13kernel_nrminfILj1024EfEEvmPKT0_PNS_15floating_traitsIS1_E6data_tEPKS6_.has_recursion, 0
	.set _ZN9rocsparseL13kernel_nrminfILj1024EfEEvmPKT0_PNS_15floating_traitsIS1_E6data_tEPKS6_.has_indirect_call, 0
	.section	.AMDGPU.csdata,"",@progbits
; Kernel info:
; codeLenInByte = 992
; TotalNumSgprs: 9
; NumVgprs: 6
; ScratchSize: 0
; MemoryBound: 0
; FloatMode: 240
; IeeeMode: 1
; LDSByteSize: 4096 bytes/workgroup (compile time only)
; SGPRBlocks: 0
; VGPRBlocks: 0
; NumSGPRsForWavesPerEU: 9
; NumVGPRsForWavesPerEU: 6
; NamedBarCnt: 0
; Occupancy: 16
; WaveLimiterHint : 0
; COMPUTE_PGM_RSRC2:SCRATCH_EN: 0
; COMPUTE_PGM_RSRC2:USER_SGPR: 2
; COMPUTE_PGM_RSRC2:TRAP_HANDLER: 0
; COMPUTE_PGM_RSRC2:TGID_X_EN: 1
; COMPUTE_PGM_RSRC2:TGID_Y_EN: 0
; COMPUTE_PGM_RSRC2:TGID_Z_EN: 0
; COMPUTE_PGM_RSRC2:TIDIG_COMP_CNT: 0
	.section	.text._ZN9rocsparseL18kernel_nrminf_diffILj1024EdEEvmPKT0_S3_PNS_15floating_traitsIS1_E6data_tEPKS6_,"axG",@progbits,_ZN9rocsparseL18kernel_nrminf_diffILj1024EdEEvmPKT0_S3_PNS_15floating_traitsIS1_E6data_tEPKS6_,comdat
	.globl	_ZN9rocsparseL18kernel_nrminf_diffILj1024EdEEvmPKT0_S3_PNS_15floating_traitsIS1_E6data_tEPKS6_ ; -- Begin function _ZN9rocsparseL18kernel_nrminf_diffILj1024EdEEvmPKT0_S3_PNS_15floating_traitsIS1_E6data_tEPKS6_
	.p2align	8
	.type	_ZN9rocsparseL18kernel_nrminf_diffILj1024EdEEvmPKT0_S3_PNS_15floating_traitsIS1_E6data_tEPKS6_,@function
_ZN9rocsparseL18kernel_nrminf_diffILj1024EdEEvmPKT0_S3_PNS_15floating_traitsIS1_E6data_tEPKS6_: ; @_ZN9rocsparseL18kernel_nrminf_diffILj1024EdEEvmPKT0_S3_PNS_15floating_traitsIS1_E6data_tEPKS6_
; %bb.0:
	s_load_b64 s[2:3], s[0:1], 0x0
	s_bfe_u32 s4, ttmp6, 0x4000c
	s_and_b32 s5, ttmp6, 15
	s_add_co_i32 s4, s4, 1
	s_getreg_b32 s6, hwreg(HW_REG_IB_STS2, 6, 4)
	s_mul_i32 s4, ttmp9, s4
	v_mov_b32_e32 v5, 0
	s_add_co_i32 s5, s5, s4
	s_cmp_eq_u32 s6, 0
	v_mov_b64_e32 v[2:3], 0
	s_cselect_b32 s4, ttmp9, s5
	s_delay_alu instid0(SALU_CYCLE_1) | instskip(SKIP_1) | instid1(VALU_DEP_1)
	v_lshl_or_b32 v4, s4, 10, v0
	s_wait_kmcnt 0x0
	v_cmp_gt_u64_e32 vcc_lo, s[2:3], v[4:5]
	s_and_saveexec_b32 s2, vcc_lo
	s_cbranch_execz .LBB80_2
; %bb.1:
	s_load_b128 s[4:7], s[0:1], 0x8
	v_lshlrev_b64_e32 v[2:3], 3, v[4:5]
	s_wait_kmcnt 0x0
	s_delay_alu instid0(VALU_DEP_1)
	v_add_nc_u64_e32 v[4:5], s[4:5], v[2:3]
	v_add_nc_u64_e32 v[2:3], s[6:7], v[2:3]
	global_load_b64 v[6:7], v[4:5], off
	global_load_b64 v[8:9], v[2:3], off
	s_wait_loadcnt 0x0
	v_add_f64_e64 v[2:3], v[6:7], -v[8:9]
	s_delay_alu instid0(VALU_DEP_1)
	v_and_b32_e32 v3, 0x7fffffff, v3
.LBB80_2:
	s_or_b32 exec_lo, exec_lo, s2
	v_lshlrev_b32_e32 v1, 3, v0
	s_mov_b32 s2, exec_lo
	ds_store_b64 v1, v[2:3]
	s_wait_dscnt 0x0
	s_barrier_signal -1
	s_barrier_wait -1
	v_cmpx_gt_u32_e32 0x200, v0
	s_cbranch_execz .LBB80_4
; %bb.3:
	ds_load_2addr_stride64_b64 v[2:5], v1 offset1:8
	s_wait_dscnt 0x0
	v_cmp_lt_f64_e32 vcc_lo, v[2:3], v[4:5]
	v_dual_cndmask_b32 v3, v3, v5 :: v_dual_cndmask_b32 v2, v2, v4
	ds_store_b64 v1, v[2:3]
.LBB80_4:
	s_or_b32 exec_lo, exec_lo, s2
	s_delay_alu instid0(SALU_CYCLE_1)
	s_mov_b32 s2, exec_lo
	s_wait_dscnt 0x0
	s_barrier_signal -1
	s_barrier_wait -1
	v_cmpx_gt_u32_e32 0x100, v0
	s_cbranch_execz .LBB80_6
; %bb.5:
	ds_load_2addr_stride64_b64 v[2:5], v1 offset1:4
	s_wait_dscnt 0x0
	v_cmp_lt_f64_e32 vcc_lo, v[2:3], v[4:5]
	v_dual_cndmask_b32 v3, v3, v5 :: v_dual_cndmask_b32 v2, v2, v4
	ds_store_b64 v1, v[2:3]
.LBB80_6:
	s_or_b32 exec_lo, exec_lo, s2
	s_delay_alu instid0(SALU_CYCLE_1)
	s_mov_b32 s2, exec_lo
	;; [unrolled: 15-line block ×4, first 2 shown]
	s_wait_dscnt 0x0
	s_barrier_signal -1
	s_barrier_wait -1
	v_cmpx_gt_u32_e32 32, v0
	s_cbranch_execz .LBB80_12
; %bb.11:
	ds_load_2addr_b64 v[2:5], v1 offset1:32
	s_wait_dscnt 0x0
	v_cmp_lt_f64_e32 vcc_lo, v[2:3], v[4:5]
	v_dual_cndmask_b32 v3, v3, v5 :: v_dual_cndmask_b32 v2, v2, v4
	ds_store_b64 v1, v[2:3]
.LBB80_12:
	s_or_b32 exec_lo, exec_lo, s2
	s_delay_alu instid0(SALU_CYCLE_1)
	s_mov_b32 s2, exec_lo
	s_wait_dscnt 0x0
	s_barrier_signal -1
	s_barrier_wait -1
	v_cmpx_gt_u32_e32 16, v0
	s_cbranch_execz .LBB80_14
; %bb.13:
	ds_load_2addr_b64 v[2:5], v1 offset1:16
	s_wait_dscnt 0x0
	v_cmp_lt_f64_e32 vcc_lo, v[2:3], v[4:5]
	v_dual_cndmask_b32 v3, v3, v5 :: v_dual_cndmask_b32 v2, v2, v4
	ds_store_b64 v1, v[2:3]
.LBB80_14:
	s_or_b32 exec_lo, exec_lo, s2
	s_delay_alu instid0(SALU_CYCLE_1)
	s_mov_b32 s2, exec_lo
	;; [unrolled: 15-line block ×4, first 2 shown]
	s_wait_dscnt 0x0
	s_barrier_signal -1
	s_barrier_wait -1
	v_cmpx_gt_u32_e32 2, v0
	s_cbranch_execz .LBB80_20
; %bb.19:
	ds_load_2addr_b64 v[2:5], v1 offset1:2
	s_wait_dscnt 0x0
	v_cmp_lt_f64_e32 vcc_lo, v[2:3], v[4:5]
	v_dual_cndmask_b32 v3, v3, v5 :: v_dual_cndmask_b32 v2, v2, v4
	ds_store_b64 v1, v[2:3]
.LBB80_20:
	s_or_b32 exec_lo, exec_lo, s2
	v_cmp_eq_u32_e32 vcc_lo, 0, v0
	s_wait_dscnt 0x0
	s_barrier_signal -1
	s_barrier_wait -1
	s_and_saveexec_b32 s3, vcc_lo
	s_cbranch_execz .LBB80_22
; %bb.21:
	v_mov_b32_e32 v4, 0
	ds_load_b128 v[0:3], v4
	s_wait_dscnt 0x0
	v_cmp_lt_f64_e64 s2, v[0:1], v[2:3]
	s_delay_alu instid0(VALU_DEP_1)
	v_dual_cndmask_b32 v1, v1, v3, s2 :: v_dual_cndmask_b32 v0, v0, v2, s2
	ds_store_b64 v4, v[0:1]
.LBB80_22:
	s_or_b32 exec_lo, exec_lo, s3
	s_wait_dscnt 0x0
	s_barrier_signal -1
	s_barrier_wait -1
	s_and_saveexec_b32 s2, vcc_lo
	s_cbranch_execz .LBB80_27
; %bb.23:
	v_mov_b32_e32 v0, 0
	s_load_b64 s[2:3], s[0:1], 0x20
	ds_load_b64 v[0:1], v0
	s_wait_kmcnt 0x0
	s_cmp_eq_u64 s[2:3], 0
	s_cbranch_scc1 .LBB80_25
; %bb.24:
	s_load_b64 s[2:3], s[2:3], 0x0
	s_wait_dscnt 0x0
	s_wait_kmcnt 0x0
	v_div_scale_f64 v[2:3], null, s[2:3], s[2:3], v[0:1]
	s_delay_alu instid0(VALU_DEP_1) | instskip(SKIP_1) | instid1(TRANS32_DEP_1)
	v_rcp_f64_e32 v[4:5], v[2:3]
	v_nop
	v_fma_f64 v[6:7], -v[2:3], v[4:5], 1.0
	s_delay_alu instid0(VALU_DEP_1) | instskip(NEXT) | instid1(VALU_DEP_1)
	v_fmac_f64_e32 v[4:5], v[4:5], v[6:7]
	v_fma_f64 v[6:7], -v[2:3], v[4:5], 1.0
	s_delay_alu instid0(VALU_DEP_1) | instskip(SKIP_1) | instid1(VALU_DEP_1)
	v_fmac_f64_e32 v[4:5], v[4:5], v[6:7]
	v_div_scale_f64 v[6:7], vcc_lo, v[0:1], s[2:3], v[0:1]
	v_mul_f64_e32 v[8:9], v[6:7], v[4:5]
	s_delay_alu instid0(VALU_DEP_1) | instskip(NEXT) | instid1(VALU_DEP_1)
	v_fma_f64 v[2:3], -v[2:3], v[8:9], v[6:7]
	v_div_fmas_f64 v[2:3], v[2:3], v[4:5], v[8:9]
	s_delay_alu instid0(VALU_DEP_1)
	v_div_fixup_f64 v[0:1], v[2:3], s[2:3], v[0:1]
.LBB80_25:
	v_mbcnt_lo_u32_b32 v2, exec_lo, 0
	s_delay_alu instid0(VALU_DEP_1)
	v_cmp_eq_u32_e32 vcc_lo, 0, v2
	s_and_b32 exec_lo, exec_lo, vcc_lo
	s_cbranch_execz .LBB80_27
; %bb.26:
	s_load_b64 s[0:1], s[0:1], 0x18
	v_mov_b32_e32 v2, 0
	s_wait_xcnt 0x0
	s_wait_dscnt 0x0
	s_wait_kmcnt 0x0
	global_atomic_max_num_f64 v2, v[0:1], s[0:1] scope:SCOPE_DEV
.LBB80_27:
	s_endpgm
	.section	.rodata,"a",@progbits
	.p2align	6, 0x0
	.amdhsa_kernel _ZN9rocsparseL18kernel_nrminf_diffILj1024EdEEvmPKT0_S3_PNS_15floating_traitsIS1_E6data_tEPKS6_
		.amdhsa_group_segment_fixed_size 8192
		.amdhsa_private_segment_fixed_size 0
		.amdhsa_kernarg_size 40
		.amdhsa_user_sgpr_count 2
		.amdhsa_user_sgpr_dispatch_ptr 0
		.amdhsa_user_sgpr_queue_ptr 0
		.amdhsa_user_sgpr_kernarg_segment_ptr 1
		.amdhsa_user_sgpr_dispatch_id 0
		.amdhsa_user_sgpr_kernarg_preload_length 0
		.amdhsa_user_sgpr_kernarg_preload_offset 0
		.amdhsa_user_sgpr_private_segment_size 0
		.amdhsa_wavefront_size32 1
		.amdhsa_uses_dynamic_stack 0
		.amdhsa_enable_private_segment 0
		.amdhsa_system_sgpr_workgroup_id_x 1
		.amdhsa_system_sgpr_workgroup_id_y 0
		.amdhsa_system_sgpr_workgroup_id_z 0
		.amdhsa_system_sgpr_workgroup_info 0
		.amdhsa_system_vgpr_workitem_id 0
		.amdhsa_next_free_vgpr 10
		.amdhsa_next_free_sgpr 8
		.amdhsa_named_barrier_count 0
		.amdhsa_reserve_vcc 1
		.amdhsa_float_round_mode_32 0
		.amdhsa_float_round_mode_16_64 0
		.amdhsa_float_denorm_mode_32 3
		.amdhsa_float_denorm_mode_16_64 3
		.amdhsa_fp16_overflow 0
		.amdhsa_memory_ordered 1
		.amdhsa_forward_progress 1
		.amdhsa_inst_pref_size 9
		.amdhsa_round_robin_scheduling 0
		.amdhsa_exception_fp_ieee_invalid_op 0
		.amdhsa_exception_fp_denorm_src 0
		.amdhsa_exception_fp_ieee_div_zero 0
		.amdhsa_exception_fp_ieee_overflow 0
		.amdhsa_exception_fp_ieee_underflow 0
		.amdhsa_exception_fp_ieee_inexact 0
		.amdhsa_exception_int_div_zero 0
	.end_amdhsa_kernel
	.section	.text._ZN9rocsparseL18kernel_nrminf_diffILj1024EdEEvmPKT0_S3_PNS_15floating_traitsIS1_E6data_tEPKS6_,"axG",@progbits,_ZN9rocsparseL18kernel_nrminf_diffILj1024EdEEvmPKT0_S3_PNS_15floating_traitsIS1_E6data_tEPKS6_,comdat
.Lfunc_end80:
	.size	_ZN9rocsparseL18kernel_nrminf_diffILj1024EdEEvmPKT0_S3_PNS_15floating_traitsIS1_E6data_tEPKS6_, .Lfunc_end80-_ZN9rocsparseL18kernel_nrminf_diffILj1024EdEEvmPKT0_S3_PNS_15floating_traitsIS1_E6data_tEPKS6_
                                        ; -- End function
	.set _ZN9rocsparseL18kernel_nrminf_diffILj1024EdEEvmPKT0_S3_PNS_15floating_traitsIS1_E6data_tEPKS6_.num_vgpr, 10
	.set _ZN9rocsparseL18kernel_nrminf_diffILj1024EdEEvmPKT0_S3_PNS_15floating_traitsIS1_E6data_tEPKS6_.num_agpr, 0
	.set _ZN9rocsparseL18kernel_nrminf_diffILj1024EdEEvmPKT0_S3_PNS_15floating_traitsIS1_E6data_tEPKS6_.numbered_sgpr, 8
	.set _ZN9rocsparseL18kernel_nrminf_diffILj1024EdEEvmPKT0_S3_PNS_15floating_traitsIS1_E6data_tEPKS6_.num_named_barrier, 0
	.set _ZN9rocsparseL18kernel_nrminf_diffILj1024EdEEvmPKT0_S3_PNS_15floating_traitsIS1_E6data_tEPKS6_.private_seg_size, 0
	.set _ZN9rocsparseL18kernel_nrminf_diffILj1024EdEEvmPKT0_S3_PNS_15floating_traitsIS1_E6data_tEPKS6_.uses_vcc, 1
	.set _ZN9rocsparseL18kernel_nrminf_diffILj1024EdEEvmPKT0_S3_PNS_15floating_traitsIS1_E6data_tEPKS6_.uses_flat_scratch, 0
	.set _ZN9rocsparseL18kernel_nrminf_diffILj1024EdEEvmPKT0_S3_PNS_15floating_traitsIS1_E6data_tEPKS6_.has_dyn_sized_stack, 0
	.set _ZN9rocsparseL18kernel_nrminf_diffILj1024EdEEvmPKT0_S3_PNS_15floating_traitsIS1_E6data_tEPKS6_.has_recursion, 0
	.set _ZN9rocsparseL18kernel_nrminf_diffILj1024EdEEvmPKT0_S3_PNS_15floating_traitsIS1_E6data_tEPKS6_.has_indirect_call, 0
	.section	.AMDGPU.csdata,"",@progbits
; Kernel info:
; codeLenInByte = 1060
; TotalNumSgprs: 10
; NumVgprs: 10
; ScratchSize: 0
; MemoryBound: 1
; FloatMode: 240
; IeeeMode: 1
; LDSByteSize: 8192 bytes/workgroup (compile time only)
; SGPRBlocks: 0
; VGPRBlocks: 0
; NumSGPRsForWavesPerEU: 10
; NumVGPRsForWavesPerEU: 10
; NamedBarCnt: 0
; Occupancy: 16
; WaveLimiterHint : 0
; COMPUTE_PGM_RSRC2:SCRATCH_EN: 0
; COMPUTE_PGM_RSRC2:USER_SGPR: 2
; COMPUTE_PGM_RSRC2:TRAP_HANDLER: 0
; COMPUTE_PGM_RSRC2:TGID_X_EN: 1
; COMPUTE_PGM_RSRC2:TGID_Y_EN: 0
; COMPUTE_PGM_RSRC2:TGID_Z_EN: 0
; COMPUTE_PGM_RSRC2:TIDIG_COMP_CNT: 0
	.section	.text._ZN9rocsparseL13kernel_nrminfILj1024EdEEvmPKT0_PNS_15floating_traitsIS1_E6data_tEPKS6_,"axG",@progbits,_ZN9rocsparseL13kernel_nrminfILj1024EdEEvmPKT0_PNS_15floating_traitsIS1_E6data_tEPKS6_,comdat
	.globl	_ZN9rocsparseL13kernel_nrminfILj1024EdEEvmPKT0_PNS_15floating_traitsIS1_E6data_tEPKS6_ ; -- Begin function _ZN9rocsparseL13kernel_nrminfILj1024EdEEvmPKT0_PNS_15floating_traitsIS1_E6data_tEPKS6_
	.p2align	8
	.type	_ZN9rocsparseL13kernel_nrminfILj1024EdEEvmPKT0_PNS_15floating_traitsIS1_E6data_tEPKS6_,@function
_ZN9rocsparseL13kernel_nrminfILj1024EdEEvmPKT0_PNS_15floating_traitsIS1_E6data_tEPKS6_: ; @_ZN9rocsparseL13kernel_nrminfILj1024EdEEvmPKT0_PNS_15floating_traitsIS1_E6data_tEPKS6_
; %bb.0:
	s_load_b64 s[2:3], s[0:1], 0x0
	s_bfe_u32 s4, ttmp6, 0x4000c
	s_and_b32 s5, ttmp6, 15
	s_add_co_i32 s4, s4, 1
	s_getreg_b32 s6, hwreg(HW_REG_IB_STS2, 6, 4)
	s_mul_i32 s4, ttmp9, s4
	v_mov_b32_e32 v5, 0
	s_add_co_i32 s5, s5, s4
	s_cmp_eq_u32 s6, 0
	v_mov_b64_e32 v[2:3], 0
	s_cselect_b32 s4, ttmp9, s5
	s_delay_alu instid0(SALU_CYCLE_1) | instskip(SKIP_1) | instid1(VALU_DEP_1)
	v_lshl_or_b32 v4, s4, 10, v0
	s_wait_kmcnt 0x0
	v_cmp_gt_u64_e32 vcc_lo, s[2:3], v[4:5]
	s_and_saveexec_b32 s2, vcc_lo
	s_cbranch_execz .LBB81_2
; %bb.1:
	s_load_b64 s[4:5], s[0:1], 0x8
	s_wait_kmcnt 0x0
	v_lshl_add_u64 v[2:3], v[4:5], 3, s[4:5]
	global_load_b64 v[2:3], v[2:3], off
	s_wait_loadcnt 0x0
	v_and_b32_e32 v3, 0x7fffffff, v3
.LBB81_2:
	s_or_b32 exec_lo, exec_lo, s2
	v_lshlrev_b32_e32 v1, 3, v0
	s_mov_b32 s2, exec_lo
	ds_store_b64 v1, v[2:3]
	s_wait_dscnt 0x0
	s_barrier_signal -1
	s_barrier_wait -1
	v_cmpx_gt_u32_e32 0x200, v0
	s_cbranch_execz .LBB81_4
; %bb.3:
	ds_load_2addr_stride64_b64 v[2:5], v1 offset1:8
	s_wait_dscnt 0x0
	v_cmp_lt_f64_e32 vcc_lo, v[2:3], v[4:5]
	v_dual_cndmask_b32 v3, v3, v5 :: v_dual_cndmask_b32 v2, v2, v4
	ds_store_b64 v1, v[2:3]
.LBB81_4:
	s_or_b32 exec_lo, exec_lo, s2
	s_delay_alu instid0(SALU_CYCLE_1)
	s_mov_b32 s2, exec_lo
	s_wait_dscnt 0x0
	s_barrier_signal -1
	s_barrier_wait -1
	v_cmpx_gt_u32_e32 0x100, v0
	s_cbranch_execz .LBB81_6
; %bb.5:
	ds_load_2addr_stride64_b64 v[2:5], v1 offset1:4
	s_wait_dscnt 0x0
	v_cmp_lt_f64_e32 vcc_lo, v[2:3], v[4:5]
	v_dual_cndmask_b32 v3, v3, v5 :: v_dual_cndmask_b32 v2, v2, v4
	ds_store_b64 v1, v[2:3]
.LBB81_6:
	s_or_b32 exec_lo, exec_lo, s2
	s_delay_alu instid0(SALU_CYCLE_1)
	s_mov_b32 s2, exec_lo
	;; [unrolled: 15-line block ×4, first 2 shown]
	s_wait_dscnt 0x0
	s_barrier_signal -1
	s_barrier_wait -1
	v_cmpx_gt_u32_e32 32, v0
	s_cbranch_execz .LBB81_12
; %bb.11:
	ds_load_2addr_b64 v[2:5], v1 offset1:32
	s_wait_dscnt 0x0
	v_cmp_lt_f64_e32 vcc_lo, v[2:3], v[4:5]
	v_dual_cndmask_b32 v3, v3, v5 :: v_dual_cndmask_b32 v2, v2, v4
	ds_store_b64 v1, v[2:3]
.LBB81_12:
	s_or_b32 exec_lo, exec_lo, s2
	s_delay_alu instid0(SALU_CYCLE_1)
	s_mov_b32 s2, exec_lo
	s_wait_dscnt 0x0
	s_barrier_signal -1
	s_barrier_wait -1
	v_cmpx_gt_u32_e32 16, v0
	s_cbranch_execz .LBB81_14
; %bb.13:
	ds_load_2addr_b64 v[2:5], v1 offset1:16
	s_wait_dscnt 0x0
	v_cmp_lt_f64_e32 vcc_lo, v[2:3], v[4:5]
	v_dual_cndmask_b32 v3, v3, v5 :: v_dual_cndmask_b32 v2, v2, v4
	ds_store_b64 v1, v[2:3]
.LBB81_14:
	s_or_b32 exec_lo, exec_lo, s2
	s_delay_alu instid0(SALU_CYCLE_1)
	s_mov_b32 s2, exec_lo
	;; [unrolled: 15-line block ×4, first 2 shown]
	s_wait_dscnt 0x0
	s_barrier_signal -1
	s_barrier_wait -1
	v_cmpx_gt_u32_e32 2, v0
	s_cbranch_execz .LBB81_20
; %bb.19:
	ds_load_2addr_b64 v[2:5], v1 offset1:2
	s_wait_dscnt 0x0
	v_cmp_lt_f64_e32 vcc_lo, v[2:3], v[4:5]
	v_dual_cndmask_b32 v3, v3, v5 :: v_dual_cndmask_b32 v2, v2, v4
	ds_store_b64 v1, v[2:3]
.LBB81_20:
	s_or_b32 exec_lo, exec_lo, s2
	v_cmp_eq_u32_e32 vcc_lo, 0, v0
	s_wait_dscnt 0x0
	s_barrier_signal -1
	s_barrier_wait -1
	s_and_saveexec_b32 s3, vcc_lo
	s_cbranch_execz .LBB81_22
; %bb.21:
	v_mov_b32_e32 v4, 0
	ds_load_b128 v[0:3], v4
	s_wait_dscnt 0x0
	v_cmp_lt_f64_e64 s2, v[0:1], v[2:3]
	s_delay_alu instid0(VALU_DEP_1)
	v_dual_cndmask_b32 v1, v1, v3, s2 :: v_dual_cndmask_b32 v0, v0, v2, s2
	ds_store_b64 v4, v[0:1]
.LBB81_22:
	s_or_b32 exec_lo, exec_lo, s3
	s_wait_dscnt 0x0
	s_barrier_signal -1
	s_barrier_wait -1
	s_and_saveexec_b32 s2, vcc_lo
	s_cbranch_execz .LBB81_27
; %bb.23:
	v_mov_b32_e32 v0, 0
	s_load_b64 s[2:3], s[0:1], 0x18
	ds_load_b64 v[0:1], v0
	s_wait_kmcnt 0x0
	s_cmp_eq_u64 s[2:3], 0
	s_cbranch_scc1 .LBB81_25
; %bb.24:
	s_load_b64 s[2:3], s[2:3], 0x0
	s_wait_dscnt 0x0
	s_wait_kmcnt 0x0
	v_div_scale_f64 v[2:3], null, s[2:3], s[2:3], v[0:1]
	s_delay_alu instid0(VALU_DEP_1) | instskip(SKIP_1) | instid1(TRANS32_DEP_1)
	v_rcp_f64_e32 v[4:5], v[2:3]
	v_nop
	v_fma_f64 v[6:7], -v[2:3], v[4:5], 1.0
	s_delay_alu instid0(VALU_DEP_1) | instskip(NEXT) | instid1(VALU_DEP_1)
	v_fmac_f64_e32 v[4:5], v[4:5], v[6:7]
	v_fma_f64 v[6:7], -v[2:3], v[4:5], 1.0
	s_delay_alu instid0(VALU_DEP_1) | instskip(SKIP_1) | instid1(VALU_DEP_1)
	v_fmac_f64_e32 v[4:5], v[4:5], v[6:7]
	v_div_scale_f64 v[6:7], vcc_lo, v[0:1], s[2:3], v[0:1]
	v_mul_f64_e32 v[8:9], v[6:7], v[4:5]
	s_delay_alu instid0(VALU_DEP_1) | instskip(NEXT) | instid1(VALU_DEP_1)
	v_fma_f64 v[2:3], -v[2:3], v[8:9], v[6:7]
	v_div_fmas_f64 v[2:3], v[2:3], v[4:5], v[8:9]
	s_delay_alu instid0(VALU_DEP_1)
	v_div_fixup_f64 v[0:1], v[2:3], s[2:3], v[0:1]
.LBB81_25:
	v_mbcnt_lo_u32_b32 v2, exec_lo, 0
	s_delay_alu instid0(VALU_DEP_1)
	v_cmp_eq_u32_e32 vcc_lo, 0, v2
	s_and_b32 exec_lo, exec_lo, vcc_lo
	s_cbranch_execz .LBB81_27
; %bb.26:
	s_load_b64 s[0:1], s[0:1], 0x10
	v_mov_b32_e32 v2, 0
	s_wait_xcnt 0x0
	s_wait_dscnt 0x0
	s_wait_kmcnt 0x0
	global_atomic_max_num_f64 v2, v[0:1], s[0:1] scope:SCOPE_DEV
.LBB81_27:
	s_endpgm
	.section	.rodata,"a",@progbits
	.p2align	6, 0x0
	.amdhsa_kernel _ZN9rocsparseL13kernel_nrminfILj1024EdEEvmPKT0_PNS_15floating_traitsIS1_E6data_tEPKS6_
		.amdhsa_group_segment_fixed_size 8192
		.amdhsa_private_segment_fixed_size 0
		.amdhsa_kernarg_size 32
		.amdhsa_user_sgpr_count 2
		.amdhsa_user_sgpr_dispatch_ptr 0
		.amdhsa_user_sgpr_queue_ptr 0
		.amdhsa_user_sgpr_kernarg_segment_ptr 1
		.amdhsa_user_sgpr_dispatch_id 0
		.amdhsa_user_sgpr_kernarg_preload_length 0
		.amdhsa_user_sgpr_kernarg_preload_offset 0
		.amdhsa_user_sgpr_private_segment_size 0
		.amdhsa_wavefront_size32 1
		.amdhsa_uses_dynamic_stack 0
		.amdhsa_enable_private_segment 0
		.amdhsa_system_sgpr_workgroup_id_x 1
		.amdhsa_system_sgpr_workgroup_id_y 0
		.amdhsa_system_sgpr_workgroup_id_z 0
		.amdhsa_system_sgpr_workgroup_info 0
		.amdhsa_system_vgpr_workitem_id 0
		.amdhsa_next_free_vgpr 10
		.amdhsa_next_free_sgpr 7
		.amdhsa_named_barrier_count 0
		.amdhsa_reserve_vcc 1
		.amdhsa_float_round_mode_32 0
		.amdhsa_float_round_mode_16_64 0
		.amdhsa_float_denorm_mode_32 3
		.amdhsa_float_denorm_mode_16_64 3
		.amdhsa_fp16_overflow 0
		.amdhsa_memory_ordered 1
		.amdhsa_forward_progress 1
		.amdhsa_inst_pref_size 9
		.amdhsa_round_robin_scheduling 0
		.amdhsa_exception_fp_ieee_invalid_op 0
		.amdhsa_exception_fp_denorm_src 0
		.amdhsa_exception_fp_ieee_div_zero 0
		.amdhsa_exception_fp_ieee_overflow 0
		.amdhsa_exception_fp_ieee_underflow 0
		.amdhsa_exception_fp_ieee_inexact 0
		.amdhsa_exception_int_div_zero 0
	.end_amdhsa_kernel
	.section	.text._ZN9rocsparseL13kernel_nrminfILj1024EdEEvmPKT0_PNS_15floating_traitsIS1_E6data_tEPKS6_,"axG",@progbits,_ZN9rocsparseL13kernel_nrminfILj1024EdEEvmPKT0_PNS_15floating_traitsIS1_E6data_tEPKS6_,comdat
.Lfunc_end81:
	.size	_ZN9rocsparseL13kernel_nrminfILj1024EdEEvmPKT0_PNS_15floating_traitsIS1_E6data_tEPKS6_, .Lfunc_end81-_ZN9rocsparseL13kernel_nrminfILj1024EdEEvmPKT0_PNS_15floating_traitsIS1_E6data_tEPKS6_
                                        ; -- End function
	.set _ZN9rocsparseL13kernel_nrminfILj1024EdEEvmPKT0_PNS_15floating_traitsIS1_E6data_tEPKS6_.num_vgpr, 10
	.set _ZN9rocsparseL13kernel_nrminfILj1024EdEEvmPKT0_PNS_15floating_traitsIS1_E6data_tEPKS6_.num_agpr, 0
	.set _ZN9rocsparseL13kernel_nrminfILj1024EdEEvmPKT0_PNS_15floating_traitsIS1_E6data_tEPKS6_.numbered_sgpr, 7
	.set _ZN9rocsparseL13kernel_nrminfILj1024EdEEvmPKT0_PNS_15floating_traitsIS1_E6data_tEPKS6_.num_named_barrier, 0
	.set _ZN9rocsparseL13kernel_nrminfILj1024EdEEvmPKT0_PNS_15floating_traitsIS1_E6data_tEPKS6_.private_seg_size, 0
	.set _ZN9rocsparseL13kernel_nrminfILj1024EdEEvmPKT0_PNS_15floating_traitsIS1_E6data_tEPKS6_.uses_vcc, 1
	.set _ZN9rocsparseL13kernel_nrminfILj1024EdEEvmPKT0_PNS_15floating_traitsIS1_E6data_tEPKS6_.uses_flat_scratch, 0
	.set _ZN9rocsparseL13kernel_nrminfILj1024EdEEvmPKT0_PNS_15floating_traitsIS1_E6data_tEPKS6_.has_dyn_sized_stack, 0
	.set _ZN9rocsparseL13kernel_nrminfILj1024EdEEvmPKT0_PNS_15floating_traitsIS1_E6data_tEPKS6_.has_recursion, 0
	.set _ZN9rocsparseL13kernel_nrminfILj1024EdEEvmPKT0_PNS_15floating_traitsIS1_E6data_tEPKS6_.has_indirect_call, 0
	.section	.AMDGPU.csdata,"",@progbits
; Kernel info:
; codeLenInByte = 1028
; TotalNumSgprs: 9
; NumVgprs: 10
; ScratchSize: 0
; MemoryBound: 1
; FloatMode: 240
; IeeeMode: 1
; LDSByteSize: 8192 bytes/workgroup (compile time only)
; SGPRBlocks: 0
; VGPRBlocks: 0
; NumSGPRsForWavesPerEU: 9
; NumVGPRsForWavesPerEU: 10
; NamedBarCnt: 0
; Occupancy: 16
; WaveLimiterHint : 0
; COMPUTE_PGM_RSRC2:SCRATCH_EN: 0
; COMPUTE_PGM_RSRC2:USER_SGPR: 2
; COMPUTE_PGM_RSRC2:TRAP_HANDLER: 0
; COMPUTE_PGM_RSRC2:TGID_X_EN: 1
; COMPUTE_PGM_RSRC2:TGID_Y_EN: 0
; COMPUTE_PGM_RSRC2:TGID_Z_EN: 0
; COMPUTE_PGM_RSRC2:TIDIG_COMP_CNT: 0
	.section	.text._ZN9rocsparseL18kernel_nrminf_diffILj1024E21rocsparse_complex_numIfEEEvmPKT0_S5_PNS_15floating_traitsIS3_E6data_tEPKS8_,"axG",@progbits,_ZN9rocsparseL18kernel_nrminf_diffILj1024E21rocsparse_complex_numIfEEEvmPKT0_S5_PNS_15floating_traitsIS3_E6data_tEPKS8_,comdat
	.globl	_ZN9rocsparseL18kernel_nrminf_diffILj1024E21rocsparse_complex_numIfEEEvmPKT0_S5_PNS_15floating_traitsIS3_E6data_tEPKS8_ ; -- Begin function _ZN9rocsparseL18kernel_nrminf_diffILj1024E21rocsparse_complex_numIfEEEvmPKT0_S5_PNS_15floating_traitsIS3_E6data_tEPKS8_
	.p2align	8
	.type	_ZN9rocsparseL18kernel_nrminf_diffILj1024E21rocsparse_complex_numIfEEEvmPKT0_S5_PNS_15floating_traitsIS3_E6data_tEPKS8_,@function
_ZN9rocsparseL18kernel_nrminf_diffILj1024E21rocsparse_complex_numIfEEEvmPKT0_S5_PNS_15floating_traitsIS3_E6data_tEPKS8_: ; @_ZN9rocsparseL18kernel_nrminf_diffILj1024E21rocsparse_complex_numIfEEEvmPKT0_S5_PNS_15floating_traitsIS3_E6data_tEPKS8_
; %bb.0:
	s_load_b64 s[2:3], s[0:1], 0x0
	s_bfe_u32 s4, ttmp6, 0x4000c
	s_and_b32 s5, ttmp6, 15
	s_add_co_i32 s4, s4, 1
	s_getreg_b32 s6, hwreg(HW_REG_IB_STS2, 6, 4)
	s_mul_i32 s4, ttmp9, s4
	v_mov_b32_e32 v3, 0
	s_add_co_i32 s5, s5, s4
	s_cmp_eq_u32 s6, 0
	s_cselect_b32 s4, ttmp9, s5
	s_delay_alu instid0(SALU_CYCLE_1) | instskip(SKIP_1) | instid1(VALU_DEP_1)
	v_lshl_or_b32 v2, s4, 10, v0
	s_wait_kmcnt 0x0
	v_cmp_gt_u64_e32 vcc_lo, s[2:3], v[2:3]
	s_and_saveexec_b32 s3, vcc_lo
	s_cbranch_execz .LBB82_8
; %bb.1:
	s_load_b128 s[4:7], s[0:1], 0x8
	v_lshlrev_b64_e32 v[2:3], 3, v[2:3]
	s_mov_b32 s2, exec_lo
	s_wait_kmcnt 0x0
	s_delay_alu instid0(VALU_DEP_1)
	v_add_nc_u64_e32 v[4:5], s[4:5], v[2:3]
	v_add_nc_u64_e32 v[2:3], s[6:7], v[2:3]
	global_load_b64 v[6:7], v[4:5], off
	global_load_b64 v[8:9], v[2:3], off
                                        ; implicit-def: $vgpr3
	s_wait_loadcnt 0x0
	v_dual_sub_f32 v1, v6, v8 :: v_dual_sub_f32 v4, v7, v9
	s_delay_alu instid0(VALU_DEP_1) | instskip(SKIP_1) | instid1(VALU_DEP_3)
	v_cmp_gt_f32_e32 vcc_lo, 0, v1
	v_cndmask_b32_e64 v1, v1, -v1, vcc_lo
	v_cmp_gt_f32_e32 vcc_lo, 0, v4
	v_cndmask_b32_e64 v2, v4, -v4, vcc_lo
	s_delay_alu instid0(VALU_DEP_1)
	v_cmpx_ngt_f32_e32 v1, v2
	s_xor_b32 s4, exec_lo, s2
	s_cbranch_execz .LBB82_5
; %bb.2:
	v_mov_b32_e32 v3, 0
	s_mov_b32 s5, exec_lo
	v_cmpx_neq_f32_e32 0, v4
	s_cbranch_execz .LBB82_4
; %bb.3:
	v_div_scale_f32 v3, null, v2, v2, v1
	v_div_scale_f32 v6, vcc_lo, v1, v2, v1
	s_delay_alu instid0(VALU_DEP_2) | instskip(SKIP_1) | instid1(TRANS32_DEP_1)
	v_rcp_f32_e32 v4, v3
	v_nop
	v_fma_f32 v5, -v3, v4, 1.0
	s_delay_alu instid0(VALU_DEP_1) | instskip(NEXT) | instid1(VALU_DEP_1)
	v_fmac_f32_e32 v4, v5, v4
	v_mul_f32_e32 v5, v6, v4
	s_delay_alu instid0(VALU_DEP_1) | instskip(NEXT) | instid1(VALU_DEP_1)
	v_fma_f32 v7, -v3, v5, v6
	v_fmac_f32_e32 v5, v7, v4
	s_delay_alu instid0(VALU_DEP_1) | instskip(NEXT) | instid1(VALU_DEP_1)
	v_fma_f32 v3, -v3, v5, v6
	v_div_fmas_f32 v3, v3, v4, v5
	s_delay_alu instid0(VALU_DEP_1) | instskip(NEXT) | instid1(VALU_DEP_1)
	v_div_fixup_f32 v1, v3, v2, v1
	v_fma_f32 v1, v1, v1, 1.0
	s_delay_alu instid0(VALU_DEP_1) | instskip(SKIP_1) | instid1(VALU_DEP_2)
	v_mul_f32_e32 v3, 0x4f800000, v1
	v_cmp_gt_f32_e32 vcc_lo, 0xf800000, v1
	v_cndmask_b32_e32 v1, v1, v3, vcc_lo
	s_delay_alu instid0(VALU_DEP_1) | instskip(SKIP_1) | instid1(TRANS32_DEP_1)
	v_sqrt_f32_e32 v3, v1
	v_nop
	v_dual_add_nc_u32 v4, -1, v3 :: v_dual_add_nc_u32 v5, 1, v3
	s_delay_alu instid0(VALU_DEP_1) | instskip(NEXT) | instid1(VALU_DEP_1)
	v_fma_f32 v6, -v4, v3, v1
	v_cmp_ge_f32_e64 s2, 0, v6
	s_delay_alu instid0(VALU_DEP_1) | instskip(NEXT) | instid1(VALU_DEP_1)
	v_dual_fma_f32 v7, -v5, v3, v1 :: v_dual_cndmask_b32 v3, v3, v4, s2
	v_cmp_lt_f32_e64 s2, 0, v7
	s_delay_alu instid0(VALU_DEP_1) | instskip(NEXT) | instid1(VALU_DEP_1)
	v_cndmask_b32_e64 v3, v3, v5, s2
	v_mul_f32_e32 v4, 0x37800000, v3
	s_delay_alu instid0(VALU_DEP_1) | instskip(SKIP_1) | instid1(VALU_DEP_2)
	v_cndmask_b32_e32 v3, v3, v4, vcc_lo
	v_cmp_class_f32_e64 vcc_lo, v1, 0x260
	v_cndmask_b32_e32 v1, v3, v1, vcc_lo
	s_delay_alu instid0(VALU_DEP_1)
	v_mul_f32_e32 v3, v2, v1
.LBB82_4:
	s_or_b32 exec_lo, exec_lo, s5
                                        ; implicit-def: $vgpr1
                                        ; implicit-def: $vgpr2
.LBB82_5:
	s_and_not1_saveexec_b32 s4, s4
	s_cbranch_execz .LBB82_7
; %bb.6:
	v_div_scale_f32 v3, null, v1, v1, v2
	v_div_scale_f32 v6, vcc_lo, v2, v1, v2
	s_delay_alu instid0(VALU_DEP_2) | instskip(SKIP_1) | instid1(TRANS32_DEP_1)
	v_rcp_f32_e32 v4, v3
	v_nop
	v_fma_f32 v5, -v3, v4, 1.0
	s_delay_alu instid0(VALU_DEP_1) | instskip(NEXT) | instid1(VALU_DEP_1)
	v_fmac_f32_e32 v4, v5, v4
	v_mul_f32_e32 v5, v6, v4
	s_delay_alu instid0(VALU_DEP_1) | instskip(NEXT) | instid1(VALU_DEP_1)
	v_fma_f32 v7, -v3, v5, v6
	v_fmac_f32_e32 v5, v7, v4
	s_delay_alu instid0(VALU_DEP_1) | instskip(NEXT) | instid1(VALU_DEP_1)
	v_fma_f32 v3, -v3, v5, v6
	v_div_fmas_f32 v3, v3, v4, v5
	s_delay_alu instid0(VALU_DEP_1) | instskip(NEXT) | instid1(VALU_DEP_1)
	v_div_fixup_f32 v2, v3, v1, v2
	v_fma_f32 v2, v2, v2, 1.0
	s_delay_alu instid0(VALU_DEP_1) | instskip(SKIP_1) | instid1(VALU_DEP_2)
	v_mul_f32_e32 v3, 0x4f800000, v2
	v_cmp_gt_f32_e32 vcc_lo, 0xf800000, v2
	v_cndmask_b32_e32 v2, v2, v3, vcc_lo
	s_delay_alu instid0(VALU_DEP_1) | instskip(SKIP_1) | instid1(TRANS32_DEP_1)
	v_sqrt_f32_e32 v3, v2
	v_nop
	v_dual_add_nc_u32 v4, -1, v3 :: v_dual_add_nc_u32 v5, 1, v3
	s_delay_alu instid0(VALU_DEP_1) | instskip(NEXT) | instid1(VALU_DEP_1)
	v_fma_f32 v6, -v4, v3, v2
	v_cmp_ge_f32_e64 s2, 0, v6
	s_delay_alu instid0(VALU_DEP_1) | instskip(NEXT) | instid1(VALU_DEP_1)
	v_dual_fma_f32 v7, -v5, v3, v2 :: v_dual_cndmask_b32 v3, v3, v4, s2
	v_cmp_lt_f32_e64 s2, 0, v7
	s_delay_alu instid0(VALU_DEP_1) | instskip(NEXT) | instid1(VALU_DEP_1)
	v_cndmask_b32_e64 v3, v3, v5, s2
	v_mul_f32_e32 v4, 0x37800000, v3
	s_delay_alu instid0(VALU_DEP_1) | instskip(SKIP_1) | instid1(VALU_DEP_2)
	v_cndmask_b32_e32 v3, v3, v4, vcc_lo
	v_cmp_class_f32_e64 vcc_lo, v2, 0x260
	v_cndmask_b32_e32 v2, v3, v2, vcc_lo
	s_delay_alu instid0(VALU_DEP_1)
	v_mul_f32_e32 v3, v1, v2
.LBB82_7:
	s_or_b32 exec_lo, exec_lo, s4
.LBB82_8:
	s_delay_alu instid0(SALU_CYCLE_1)
	s_or_b32 exec_lo, exec_lo, s3
	v_lshlrev_b32_e32 v1, 2, v0
	s_mov_b32 s2, exec_lo
	ds_store_b32 v1, v3
	s_wait_dscnt 0x0
	s_barrier_signal -1
	s_barrier_wait -1
	v_cmpx_gt_u32_e32 0x200, v0
	s_cbranch_execz .LBB82_10
; %bb.9:
	ds_load_2addr_stride64_b32 v[2:3], v1 offset1:8
	s_wait_dscnt 0x0
	v_cmp_lt_f32_e32 vcc_lo, v2, v3
	v_cndmask_b32_e32 v2, v2, v3, vcc_lo
	ds_store_b32 v1, v2
.LBB82_10:
	s_or_b32 exec_lo, exec_lo, s2
	s_delay_alu instid0(SALU_CYCLE_1)
	s_mov_b32 s2, exec_lo
	s_wait_dscnt 0x0
	s_barrier_signal -1
	s_barrier_wait -1
	v_cmpx_gt_u32_e32 0x100, v0
	s_cbranch_execz .LBB82_12
; %bb.11:
	ds_load_2addr_stride64_b32 v[2:3], v1 offset1:4
	s_wait_dscnt 0x0
	v_cmp_lt_f32_e32 vcc_lo, v2, v3
	v_cndmask_b32_e32 v2, v2, v3, vcc_lo
	ds_store_b32 v1, v2
.LBB82_12:
	s_or_b32 exec_lo, exec_lo, s2
	s_delay_alu instid0(SALU_CYCLE_1)
	s_mov_b32 s2, exec_lo
	;; [unrolled: 15-line block ×4, first 2 shown]
	s_wait_dscnt 0x0
	s_barrier_signal -1
	s_barrier_wait -1
	v_cmpx_gt_u32_e32 32, v0
	s_cbranch_execz .LBB82_18
; %bb.17:
	ds_load_2addr_b32 v[2:3], v1 offset1:32
	s_wait_dscnt 0x0
	v_cmp_lt_f32_e32 vcc_lo, v2, v3
	v_cndmask_b32_e32 v2, v2, v3, vcc_lo
	ds_store_b32 v1, v2
.LBB82_18:
	s_or_b32 exec_lo, exec_lo, s2
	s_delay_alu instid0(SALU_CYCLE_1)
	s_mov_b32 s2, exec_lo
	s_wait_dscnt 0x0
	s_barrier_signal -1
	s_barrier_wait -1
	v_cmpx_gt_u32_e32 16, v0
	s_cbranch_execz .LBB82_20
; %bb.19:
	ds_load_2addr_b32 v[2:3], v1 offset1:16
	s_wait_dscnt 0x0
	v_cmp_lt_f32_e32 vcc_lo, v2, v3
	v_cndmask_b32_e32 v2, v2, v3, vcc_lo
	ds_store_b32 v1, v2
.LBB82_20:
	s_or_b32 exec_lo, exec_lo, s2
	s_delay_alu instid0(SALU_CYCLE_1)
	s_mov_b32 s2, exec_lo
	;; [unrolled: 15-line block ×4, first 2 shown]
	s_wait_dscnt 0x0
	s_barrier_signal -1
	s_barrier_wait -1
	v_cmpx_gt_u32_e32 2, v0
	s_cbranch_execz .LBB82_26
; %bb.25:
	ds_load_2addr_b32 v[2:3], v1 offset1:2
	s_wait_dscnt 0x0
	v_cmp_lt_f32_e32 vcc_lo, v2, v3
	v_cndmask_b32_e32 v2, v2, v3, vcc_lo
	ds_store_b32 v1, v2
.LBB82_26:
	s_or_b32 exec_lo, exec_lo, s2
	v_cmp_eq_u32_e32 vcc_lo, 0, v0
	s_wait_dscnt 0x0
	s_barrier_signal -1
	s_barrier_wait -1
	s_and_saveexec_b32 s3, vcc_lo
	s_cbranch_execz .LBB82_28
; %bb.27:
	v_mov_b32_e32 v2, 0
	ds_load_b64 v[0:1], v2
	s_wait_dscnt 0x0
	v_cmp_lt_f32_e64 s2, v0, v1
	s_delay_alu instid0(VALU_DEP_1)
	v_cndmask_b32_e64 v0, v0, v1, s2
	ds_store_b32 v2, v0
.LBB82_28:
	s_or_b32 exec_lo, exec_lo, s3
	s_wait_dscnt 0x0
	s_barrier_signal -1
	s_barrier_wait -1
	s_and_saveexec_b32 s2, vcc_lo
	s_cbranch_execz .LBB82_33
; %bb.29:
	v_mov_b32_e32 v0, 0
	s_load_b64 s[2:3], s[0:1], 0x20
	ds_load_b32 v0, v0
	s_wait_kmcnt 0x0
	s_cmp_eq_u64 s[2:3], 0
	s_cbranch_scc1 .LBB82_31
; %bb.30:
	s_load_b32 s2, s[2:3], 0x0
	s_wait_dscnt 0x0
	s_wait_kmcnt 0x0
	v_div_scale_f32 v1, null, s2, s2, v0
	s_delay_alu instid0(VALU_DEP_1)
	v_rcp_f32_e32 v2, v1
	v_nop
	v_xor_b32_e32 v1, 0x80000000, v1
	s_delay_alu instid0(TRANS32_DEP_1) | instid1(VALU_DEP_1)
	v_fma_f32 v3, v1, v2, 1.0
	s_delay_alu instid0(VALU_DEP_1) | instskip(SKIP_1) | instid1(VALU_DEP_1)
	v_fmac_f32_e32 v2, v3, v2
	v_div_scale_f32 v3, vcc_lo, v0, s2, v0
	v_mul_f32_e32 v4, v3, v2
	s_delay_alu instid0(VALU_DEP_1) | instskip(NEXT) | instid1(VALU_DEP_1)
	v_fma_f32 v5, v1, v4, v3
	v_fmac_f32_e32 v4, v5, v2
	s_delay_alu instid0(VALU_DEP_1) | instskip(NEXT) | instid1(VALU_DEP_1)
	v_fmac_f32_e32 v3, v1, v4
	v_div_fmas_f32 v1, v3, v2, v4
	s_delay_alu instid0(VALU_DEP_1)
	v_div_fixup_f32 v0, v1, s2, v0
.LBB82_31:
	v_mbcnt_lo_u32_b32 v1, exec_lo, 0
	s_delay_alu instid0(VALU_DEP_1)
	v_cmp_eq_u32_e32 vcc_lo, 0, v1
	s_and_b32 exec_lo, exec_lo, vcc_lo
	s_cbranch_execz .LBB82_33
; %bb.32:
	s_load_b64 s[0:1], s[0:1], 0x18
	v_mov_b32_e32 v1, 0
	s_wait_xcnt 0x0
	s_wait_dscnt 0x0
	s_wait_kmcnt 0x0
	global_atomic_max_num_f32 v1, v0, s[0:1] scope:SCOPE_DEV
.LBB82_33:
	s_endpgm
	.section	.rodata,"a",@progbits
	.p2align	6, 0x0
	.amdhsa_kernel _ZN9rocsparseL18kernel_nrminf_diffILj1024E21rocsparse_complex_numIfEEEvmPKT0_S5_PNS_15floating_traitsIS3_E6data_tEPKS8_
		.amdhsa_group_segment_fixed_size 4096
		.amdhsa_private_segment_fixed_size 0
		.amdhsa_kernarg_size 40
		.amdhsa_user_sgpr_count 2
		.amdhsa_user_sgpr_dispatch_ptr 0
		.amdhsa_user_sgpr_queue_ptr 0
		.amdhsa_user_sgpr_kernarg_segment_ptr 1
		.amdhsa_user_sgpr_dispatch_id 0
		.amdhsa_user_sgpr_kernarg_preload_length 0
		.amdhsa_user_sgpr_kernarg_preload_offset 0
		.amdhsa_user_sgpr_private_segment_size 0
		.amdhsa_wavefront_size32 1
		.amdhsa_uses_dynamic_stack 0
		.amdhsa_enable_private_segment 0
		.amdhsa_system_sgpr_workgroup_id_x 1
		.amdhsa_system_sgpr_workgroup_id_y 0
		.amdhsa_system_sgpr_workgroup_id_z 0
		.amdhsa_system_sgpr_workgroup_info 0
		.amdhsa_system_vgpr_workitem_id 0
		.amdhsa_next_free_vgpr 10
		.amdhsa_next_free_sgpr 8
		.amdhsa_named_barrier_count 0
		.amdhsa_reserve_vcc 1
		.amdhsa_float_round_mode_32 0
		.amdhsa_float_round_mode_16_64 0
		.amdhsa_float_denorm_mode_32 3
		.amdhsa_float_denorm_mode_16_64 3
		.amdhsa_fp16_overflow 0
		.amdhsa_memory_ordered 1
		.amdhsa_forward_progress 1
		.amdhsa_inst_pref_size 13
		.amdhsa_round_robin_scheduling 0
		.amdhsa_exception_fp_ieee_invalid_op 0
		.amdhsa_exception_fp_denorm_src 0
		.amdhsa_exception_fp_ieee_div_zero 0
		.amdhsa_exception_fp_ieee_overflow 0
		.amdhsa_exception_fp_ieee_underflow 0
		.amdhsa_exception_fp_ieee_inexact 0
		.amdhsa_exception_int_div_zero 0
	.end_amdhsa_kernel
	.section	.text._ZN9rocsparseL18kernel_nrminf_diffILj1024E21rocsparse_complex_numIfEEEvmPKT0_S5_PNS_15floating_traitsIS3_E6data_tEPKS8_,"axG",@progbits,_ZN9rocsparseL18kernel_nrminf_diffILj1024E21rocsparse_complex_numIfEEEvmPKT0_S5_PNS_15floating_traitsIS3_E6data_tEPKS8_,comdat
.Lfunc_end82:
	.size	_ZN9rocsparseL18kernel_nrminf_diffILj1024E21rocsparse_complex_numIfEEEvmPKT0_S5_PNS_15floating_traitsIS3_E6data_tEPKS8_, .Lfunc_end82-_ZN9rocsparseL18kernel_nrminf_diffILj1024E21rocsparse_complex_numIfEEEvmPKT0_S5_PNS_15floating_traitsIS3_E6data_tEPKS8_
                                        ; -- End function
	.set _ZN9rocsparseL18kernel_nrminf_diffILj1024E21rocsparse_complex_numIfEEEvmPKT0_S5_PNS_15floating_traitsIS3_E6data_tEPKS8_.num_vgpr, 10
	.set _ZN9rocsparseL18kernel_nrminf_diffILj1024E21rocsparse_complex_numIfEEEvmPKT0_S5_PNS_15floating_traitsIS3_E6data_tEPKS8_.num_agpr, 0
	.set _ZN9rocsparseL18kernel_nrminf_diffILj1024E21rocsparse_complex_numIfEEEvmPKT0_S5_PNS_15floating_traitsIS3_E6data_tEPKS8_.numbered_sgpr, 8
	.set _ZN9rocsparseL18kernel_nrminf_diffILj1024E21rocsparse_complex_numIfEEEvmPKT0_S5_PNS_15floating_traitsIS3_E6data_tEPKS8_.num_named_barrier, 0
	.set _ZN9rocsparseL18kernel_nrminf_diffILj1024E21rocsparse_complex_numIfEEEvmPKT0_S5_PNS_15floating_traitsIS3_E6data_tEPKS8_.private_seg_size, 0
	.set _ZN9rocsparseL18kernel_nrminf_diffILj1024E21rocsparse_complex_numIfEEEvmPKT0_S5_PNS_15floating_traitsIS3_E6data_tEPKS8_.uses_vcc, 1
	.set _ZN9rocsparseL18kernel_nrminf_diffILj1024E21rocsparse_complex_numIfEEEvmPKT0_S5_PNS_15floating_traitsIS3_E6data_tEPKS8_.uses_flat_scratch, 0
	.set _ZN9rocsparseL18kernel_nrminf_diffILj1024E21rocsparse_complex_numIfEEEvmPKT0_S5_PNS_15floating_traitsIS3_E6data_tEPKS8_.has_dyn_sized_stack, 0
	.set _ZN9rocsparseL18kernel_nrminf_diffILj1024E21rocsparse_complex_numIfEEEvmPKT0_S5_PNS_15floating_traitsIS3_E6data_tEPKS8_.has_recursion, 0
	.set _ZN9rocsparseL18kernel_nrminf_diffILj1024E21rocsparse_complex_numIfEEEvmPKT0_S5_PNS_15floating_traitsIS3_E6data_tEPKS8_.has_indirect_call, 0
	.section	.AMDGPU.csdata,"",@progbits
; Kernel info:
; codeLenInByte = 1592
; TotalNumSgprs: 10
; NumVgprs: 10
; ScratchSize: 0
; MemoryBound: 0
; FloatMode: 240
; IeeeMode: 1
; LDSByteSize: 4096 bytes/workgroup (compile time only)
; SGPRBlocks: 0
; VGPRBlocks: 0
; NumSGPRsForWavesPerEU: 10
; NumVGPRsForWavesPerEU: 10
; NamedBarCnt: 0
; Occupancy: 16
; WaveLimiterHint : 0
; COMPUTE_PGM_RSRC2:SCRATCH_EN: 0
; COMPUTE_PGM_RSRC2:USER_SGPR: 2
; COMPUTE_PGM_RSRC2:TRAP_HANDLER: 0
; COMPUTE_PGM_RSRC2:TGID_X_EN: 1
; COMPUTE_PGM_RSRC2:TGID_Y_EN: 0
; COMPUTE_PGM_RSRC2:TGID_Z_EN: 0
; COMPUTE_PGM_RSRC2:TIDIG_COMP_CNT: 0
	.section	.text._ZN9rocsparseL13kernel_nrminfILj1024E21rocsparse_complex_numIfEEEvmPKT0_PNS_15floating_traitsIS3_E6data_tEPKS8_,"axG",@progbits,_ZN9rocsparseL13kernel_nrminfILj1024E21rocsparse_complex_numIfEEEvmPKT0_PNS_15floating_traitsIS3_E6data_tEPKS8_,comdat
	.globl	_ZN9rocsparseL13kernel_nrminfILj1024E21rocsparse_complex_numIfEEEvmPKT0_PNS_15floating_traitsIS3_E6data_tEPKS8_ ; -- Begin function _ZN9rocsparseL13kernel_nrminfILj1024E21rocsparse_complex_numIfEEEvmPKT0_PNS_15floating_traitsIS3_E6data_tEPKS8_
	.p2align	8
	.type	_ZN9rocsparseL13kernel_nrminfILj1024E21rocsparse_complex_numIfEEEvmPKT0_PNS_15floating_traitsIS3_E6data_tEPKS8_,@function
_ZN9rocsparseL13kernel_nrminfILj1024E21rocsparse_complex_numIfEEEvmPKT0_PNS_15floating_traitsIS3_E6data_tEPKS8_: ; @_ZN9rocsparseL13kernel_nrminfILj1024E21rocsparse_complex_numIfEEEvmPKT0_PNS_15floating_traitsIS3_E6data_tEPKS8_
; %bb.0:
	s_load_b64 s[2:3], s[0:1], 0x0
	s_bfe_u32 s4, ttmp6, 0x4000c
	s_and_b32 s5, ttmp6, 15
	s_add_co_i32 s4, s4, 1
	s_getreg_b32 s6, hwreg(HW_REG_IB_STS2, 6, 4)
	s_mul_i32 s4, ttmp9, s4
	v_mov_b32_e32 v3, 0
	s_add_co_i32 s5, s5, s4
	s_cmp_eq_u32 s6, 0
	s_cselect_b32 s4, ttmp9, s5
	s_delay_alu instid0(SALU_CYCLE_1) | instskip(SKIP_1) | instid1(VALU_DEP_1)
	v_lshl_or_b32 v2, s4, 10, v0
	s_wait_kmcnt 0x0
	v_cmp_gt_u64_e32 vcc_lo, s[2:3], v[2:3]
	s_and_saveexec_b32 s3, vcc_lo
	s_cbranch_execz .LBB83_8
; %bb.1:
	s_load_b64 s[4:5], s[0:1], 0x8
	s_mov_b32 s2, exec_lo
	s_wait_kmcnt 0x0
	v_lshl_add_u64 v[2:3], v[2:3], 3, s[4:5]
	global_load_b64 v[4:5], v[2:3], off
                                        ; implicit-def: $vgpr3
	s_wait_loadcnt 0x0
	v_cmp_gt_f32_e32 vcc_lo, 0, v4
	v_cndmask_b32_e64 v1, v4, -v4, vcc_lo
	v_cmp_gt_f32_e32 vcc_lo, 0, v5
	v_cndmask_b32_e64 v2, v5, -v5, vcc_lo
	s_delay_alu instid0(VALU_DEP_1)
	v_cmpx_ngt_f32_e32 v1, v2
	s_xor_b32 s4, exec_lo, s2
	s_cbranch_execz .LBB83_5
; %bb.2:
	v_mov_b32_e32 v3, 0
	s_mov_b32 s5, exec_lo
	v_cmpx_neq_f32_e32 0, v5
	s_cbranch_execz .LBB83_4
; %bb.3:
	v_div_scale_f32 v3, null, v2, v2, v1
	v_div_scale_f32 v6, vcc_lo, v1, v2, v1
	s_delay_alu instid0(VALU_DEP_2) | instskip(SKIP_1) | instid1(TRANS32_DEP_1)
	v_rcp_f32_e32 v4, v3
	v_nop
	v_fma_f32 v5, -v3, v4, 1.0
	s_delay_alu instid0(VALU_DEP_1) | instskip(NEXT) | instid1(VALU_DEP_1)
	v_fmac_f32_e32 v4, v5, v4
	v_mul_f32_e32 v5, v6, v4
	s_delay_alu instid0(VALU_DEP_1) | instskip(NEXT) | instid1(VALU_DEP_1)
	v_fma_f32 v7, -v3, v5, v6
	v_fmac_f32_e32 v5, v7, v4
	s_delay_alu instid0(VALU_DEP_1) | instskip(NEXT) | instid1(VALU_DEP_1)
	v_fma_f32 v3, -v3, v5, v6
	v_div_fmas_f32 v3, v3, v4, v5
	s_delay_alu instid0(VALU_DEP_1) | instskip(NEXT) | instid1(VALU_DEP_1)
	v_div_fixup_f32 v1, v3, v2, v1
	v_fma_f32 v1, v1, v1, 1.0
	s_delay_alu instid0(VALU_DEP_1) | instskip(SKIP_1) | instid1(VALU_DEP_2)
	v_mul_f32_e32 v3, 0x4f800000, v1
	v_cmp_gt_f32_e32 vcc_lo, 0xf800000, v1
	v_cndmask_b32_e32 v1, v1, v3, vcc_lo
	s_delay_alu instid0(VALU_DEP_1) | instskip(SKIP_1) | instid1(TRANS32_DEP_1)
	v_sqrt_f32_e32 v3, v1
	v_nop
	v_dual_add_nc_u32 v4, -1, v3 :: v_dual_add_nc_u32 v5, 1, v3
	s_delay_alu instid0(VALU_DEP_1) | instskip(NEXT) | instid1(VALU_DEP_1)
	v_fma_f32 v6, -v4, v3, v1
	v_cmp_ge_f32_e64 s2, 0, v6
	s_delay_alu instid0(VALU_DEP_1) | instskip(NEXT) | instid1(VALU_DEP_1)
	v_dual_fma_f32 v7, -v5, v3, v1 :: v_dual_cndmask_b32 v3, v3, v4, s2
	v_cmp_lt_f32_e64 s2, 0, v7
	s_delay_alu instid0(VALU_DEP_1) | instskip(NEXT) | instid1(VALU_DEP_1)
	v_cndmask_b32_e64 v3, v3, v5, s2
	v_mul_f32_e32 v4, 0x37800000, v3
	s_delay_alu instid0(VALU_DEP_1) | instskip(SKIP_1) | instid1(VALU_DEP_2)
	v_cndmask_b32_e32 v3, v3, v4, vcc_lo
	v_cmp_class_f32_e64 vcc_lo, v1, 0x260
	v_cndmask_b32_e32 v1, v3, v1, vcc_lo
	s_delay_alu instid0(VALU_DEP_1)
	v_mul_f32_e32 v3, v2, v1
.LBB83_4:
	s_or_b32 exec_lo, exec_lo, s5
                                        ; implicit-def: $vgpr1
                                        ; implicit-def: $vgpr2
.LBB83_5:
	s_and_not1_saveexec_b32 s4, s4
	s_cbranch_execz .LBB83_7
; %bb.6:
	v_div_scale_f32 v3, null, v1, v1, v2
	v_div_scale_f32 v6, vcc_lo, v2, v1, v2
	s_delay_alu instid0(VALU_DEP_2) | instskip(SKIP_1) | instid1(TRANS32_DEP_1)
	v_rcp_f32_e32 v4, v3
	v_nop
	v_fma_f32 v5, -v3, v4, 1.0
	s_delay_alu instid0(VALU_DEP_1) | instskip(NEXT) | instid1(VALU_DEP_1)
	v_fmac_f32_e32 v4, v5, v4
	v_mul_f32_e32 v5, v6, v4
	s_delay_alu instid0(VALU_DEP_1) | instskip(NEXT) | instid1(VALU_DEP_1)
	v_fma_f32 v7, -v3, v5, v6
	v_fmac_f32_e32 v5, v7, v4
	s_delay_alu instid0(VALU_DEP_1) | instskip(NEXT) | instid1(VALU_DEP_1)
	v_fma_f32 v3, -v3, v5, v6
	v_div_fmas_f32 v3, v3, v4, v5
	s_delay_alu instid0(VALU_DEP_1) | instskip(NEXT) | instid1(VALU_DEP_1)
	v_div_fixup_f32 v2, v3, v1, v2
	v_fma_f32 v2, v2, v2, 1.0
	s_delay_alu instid0(VALU_DEP_1) | instskip(SKIP_1) | instid1(VALU_DEP_2)
	v_mul_f32_e32 v3, 0x4f800000, v2
	v_cmp_gt_f32_e32 vcc_lo, 0xf800000, v2
	v_cndmask_b32_e32 v2, v2, v3, vcc_lo
	s_delay_alu instid0(VALU_DEP_1) | instskip(SKIP_1) | instid1(TRANS32_DEP_1)
	v_sqrt_f32_e32 v3, v2
	v_nop
	v_dual_add_nc_u32 v4, -1, v3 :: v_dual_add_nc_u32 v5, 1, v3
	s_delay_alu instid0(VALU_DEP_1) | instskip(NEXT) | instid1(VALU_DEP_1)
	v_fma_f32 v6, -v4, v3, v2
	v_cmp_ge_f32_e64 s2, 0, v6
	s_delay_alu instid0(VALU_DEP_1) | instskip(NEXT) | instid1(VALU_DEP_1)
	v_dual_fma_f32 v7, -v5, v3, v2 :: v_dual_cndmask_b32 v3, v3, v4, s2
	v_cmp_lt_f32_e64 s2, 0, v7
	s_delay_alu instid0(VALU_DEP_1) | instskip(NEXT) | instid1(VALU_DEP_1)
	v_cndmask_b32_e64 v3, v3, v5, s2
	v_mul_f32_e32 v4, 0x37800000, v3
	s_delay_alu instid0(VALU_DEP_1) | instskip(SKIP_1) | instid1(VALU_DEP_2)
	v_cndmask_b32_e32 v3, v3, v4, vcc_lo
	v_cmp_class_f32_e64 vcc_lo, v2, 0x260
	v_cndmask_b32_e32 v2, v3, v2, vcc_lo
	s_delay_alu instid0(VALU_DEP_1)
	v_mul_f32_e32 v3, v1, v2
.LBB83_7:
	s_or_b32 exec_lo, exec_lo, s4
.LBB83_8:
	s_delay_alu instid0(SALU_CYCLE_1)
	s_or_b32 exec_lo, exec_lo, s3
	v_lshlrev_b32_e32 v1, 2, v0
	s_mov_b32 s2, exec_lo
	ds_store_b32 v1, v3
	s_wait_dscnt 0x0
	s_barrier_signal -1
	s_barrier_wait -1
	v_cmpx_gt_u32_e32 0x200, v0
	s_cbranch_execz .LBB83_10
; %bb.9:
	ds_load_2addr_stride64_b32 v[2:3], v1 offset1:8
	s_wait_dscnt 0x0
	v_cmp_lt_f32_e32 vcc_lo, v2, v3
	v_cndmask_b32_e32 v2, v2, v3, vcc_lo
	ds_store_b32 v1, v2
.LBB83_10:
	s_or_b32 exec_lo, exec_lo, s2
	s_delay_alu instid0(SALU_CYCLE_1)
	s_mov_b32 s2, exec_lo
	s_wait_dscnt 0x0
	s_barrier_signal -1
	s_barrier_wait -1
	v_cmpx_gt_u32_e32 0x100, v0
	s_cbranch_execz .LBB83_12
; %bb.11:
	ds_load_2addr_stride64_b32 v[2:3], v1 offset1:4
	s_wait_dscnt 0x0
	v_cmp_lt_f32_e32 vcc_lo, v2, v3
	v_cndmask_b32_e32 v2, v2, v3, vcc_lo
	ds_store_b32 v1, v2
.LBB83_12:
	s_or_b32 exec_lo, exec_lo, s2
	s_delay_alu instid0(SALU_CYCLE_1)
	s_mov_b32 s2, exec_lo
	;; [unrolled: 15-line block ×4, first 2 shown]
	s_wait_dscnt 0x0
	s_barrier_signal -1
	s_barrier_wait -1
	v_cmpx_gt_u32_e32 32, v0
	s_cbranch_execz .LBB83_18
; %bb.17:
	ds_load_2addr_b32 v[2:3], v1 offset1:32
	s_wait_dscnt 0x0
	v_cmp_lt_f32_e32 vcc_lo, v2, v3
	v_cndmask_b32_e32 v2, v2, v3, vcc_lo
	ds_store_b32 v1, v2
.LBB83_18:
	s_or_b32 exec_lo, exec_lo, s2
	s_delay_alu instid0(SALU_CYCLE_1)
	s_mov_b32 s2, exec_lo
	s_wait_dscnt 0x0
	s_barrier_signal -1
	s_barrier_wait -1
	v_cmpx_gt_u32_e32 16, v0
	s_cbranch_execz .LBB83_20
; %bb.19:
	ds_load_2addr_b32 v[2:3], v1 offset1:16
	s_wait_dscnt 0x0
	v_cmp_lt_f32_e32 vcc_lo, v2, v3
	v_cndmask_b32_e32 v2, v2, v3, vcc_lo
	ds_store_b32 v1, v2
.LBB83_20:
	s_or_b32 exec_lo, exec_lo, s2
	s_delay_alu instid0(SALU_CYCLE_1)
	s_mov_b32 s2, exec_lo
	;; [unrolled: 15-line block ×4, first 2 shown]
	s_wait_dscnt 0x0
	s_barrier_signal -1
	s_barrier_wait -1
	v_cmpx_gt_u32_e32 2, v0
	s_cbranch_execz .LBB83_26
; %bb.25:
	ds_load_2addr_b32 v[2:3], v1 offset1:2
	s_wait_dscnt 0x0
	v_cmp_lt_f32_e32 vcc_lo, v2, v3
	v_cndmask_b32_e32 v2, v2, v3, vcc_lo
	ds_store_b32 v1, v2
.LBB83_26:
	s_or_b32 exec_lo, exec_lo, s2
	v_cmp_eq_u32_e32 vcc_lo, 0, v0
	s_wait_dscnt 0x0
	s_barrier_signal -1
	s_barrier_wait -1
	s_and_saveexec_b32 s3, vcc_lo
	s_cbranch_execz .LBB83_28
; %bb.27:
	v_mov_b32_e32 v2, 0
	ds_load_b64 v[0:1], v2
	s_wait_dscnt 0x0
	v_cmp_lt_f32_e64 s2, v0, v1
	s_delay_alu instid0(VALU_DEP_1)
	v_cndmask_b32_e64 v0, v0, v1, s2
	ds_store_b32 v2, v0
.LBB83_28:
	s_or_b32 exec_lo, exec_lo, s3
	s_wait_dscnt 0x0
	s_barrier_signal -1
	s_barrier_wait -1
	s_and_saveexec_b32 s2, vcc_lo
	s_cbranch_execz .LBB83_33
; %bb.29:
	v_mov_b32_e32 v0, 0
	s_load_b64 s[2:3], s[0:1], 0x18
	ds_load_b32 v0, v0
	s_wait_kmcnt 0x0
	s_cmp_eq_u64 s[2:3], 0
	s_cbranch_scc1 .LBB83_31
; %bb.30:
	s_load_b32 s2, s[2:3], 0x0
	s_wait_dscnt 0x0
	s_wait_kmcnt 0x0
	v_div_scale_f32 v1, null, s2, s2, v0
	s_delay_alu instid0(VALU_DEP_1)
	v_rcp_f32_e32 v2, v1
	v_nop
	v_xor_b32_e32 v1, 0x80000000, v1
	s_delay_alu instid0(TRANS32_DEP_1) | instid1(VALU_DEP_1)
	v_fma_f32 v3, v1, v2, 1.0
	s_delay_alu instid0(VALU_DEP_1) | instskip(SKIP_1) | instid1(VALU_DEP_1)
	v_fmac_f32_e32 v2, v3, v2
	v_div_scale_f32 v3, vcc_lo, v0, s2, v0
	v_mul_f32_e32 v4, v3, v2
	s_delay_alu instid0(VALU_DEP_1) | instskip(NEXT) | instid1(VALU_DEP_1)
	v_fma_f32 v5, v1, v4, v3
	v_fmac_f32_e32 v4, v5, v2
	s_delay_alu instid0(VALU_DEP_1) | instskip(NEXT) | instid1(VALU_DEP_1)
	v_fmac_f32_e32 v3, v1, v4
	v_div_fmas_f32 v1, v3, v2, v4
	s_delay_alu instid0(VALU_DEP_1)
	v_div_fixup_f32 v0, v1, s2, v0
.LBB83_31:
	v_mbcnt_lo_u32_b32 v1, exec_lo, 0
	s_delay_alu instid0(VALU_DEP_1)
	v_cmp_eq_u32_e32 vcc_lo, 0, v1
	s_and_b32 exec_lo, exec_lo, vcc_lo
	s_cbranch_execz .LBB83_33
; %bb.32:
	s_load_b64 s[0:1], s[0:1], 0x10
	v_mov_b32_e32 v1, 0
	s_wait_xcnt 0x0
	s_wait_dscnt 0x0
	s_wait_kmcnt 0x0
	global_atomic_max_num_f32 v1, v0, s[0:1] scope:SCOPE_DEV
.LBB83_33:
	s_endpgm
	.section	.rodata,"a",@progbits
	.p2align	6, 0x0
	.amdhsa_kernel _ZN9rocsparseL13kernel_nrminfILj1024E21rocsparse_complex_numIfEEEvmPKT0_PNS_15floating_traitsIS3_E6data_tEPKS8_
		.amdhsa_group_segment_fixed_size 4096
		.amdhsa_private_segment_fixed_size 0
		.amdhsa_kernarg_size 32
		.amdhsa_user_sgpr_count 2
		.amdhsa_user_sgpr_dispatch_ptr 0
		.amdhsa_user_sgpr_queue_ptr 0
		.amdhsa_user_sgpr_kernarg_segment_ptr 1
		.amdhsa_user_sgpr_dispatch_id 0
		.amdhsa_user_sgpr_kernarg_preload_length 0
		.amdhsa_user_sgpr_kernarg_preload_offset 0
		.amdhsa_user_sgpr_private_segment_size 0
		.amdhsa_wavefront_size32 1
		.amdhsa_uses_dynamic_stack 0
		.amdhsa_enable_private_segment 0
		.amdhsa_system_sgpr_workgroup_id_x 1
		.amdhsa_system_sgpr_workgroup_id_y 0
		.amdhsa_system_sgpr_workgroup_id_z 0
		.amdhsa_system_sgpr_workgroup_info 0
		.amdhsa_system_vgpr_workitem_id 0
		.amdhsa_next_free_vgpr 8
		.amdhsa_next_free_sgpr 7
		.amdhsa_named_barrier_count 0
		.amdhsa_reserve_vcc 1
		.amdhsa_float_round_mode_32 0
		.amdhsa_float_round_mode_16_64 0
		.amdhsa_float_denorm_mode_32 3
		.amdhsa_float_denorm_mode_16_64 3
		.amdhsa_fp16_overflow 0
		.amdhsa_memory_ordered 1
		.amdhsa_forward_progress 1
		.amdhsa_inst_pref_size 13
		.amdhsa_round_robin_scheduling 0
		.amdhsa_exception_fp_ieee_invalid_op 0
		.amdhsa_exception_fp_denorm_src 0
		.amdhsa_exception_fp_ieee_div_zero 0
		.amdhsa_exception_fp_ieee_overflow 0
		.amdhsa_exception_fp_ieee_underflow 0
		.amdhsa_exception_fp_ieee_inexact 0
		.amdhsa_exception_int_div_zero 0
	.end_amdhsa_kernel
	.section	.text._ZN9rocsparseL13kernel_nrminfILj1024E21rocsparse_complex_numIfEEEvmPKT0_PNS_15floating_traitsIS3_E6data_tEPKS8_,"axG",@progbits,_ZN9rocsparseL13kernel_nrminfILj1024E21rocsparse_complex_numIfEEEvmPKT0_PNS_15floating_traitsIS3_E6data_tEPKS8_,comdat
.Lfunc_end83:
	.size	_ZN9rocsparseL13kernel_nrminfILj1024E21rocsparse_complex_numIfEEEvmPKT0_PNS_15floating_traitsIS3_E6data_tEPKS8_, .Lfunc_end83-_ZN9rocsparseL13kernel_nrminfILj1024E21rocsparse_complex_numIfEEEvmPKT0_PNS_15floating_traitsIS3_E6data_tEPKS8_
                                        ; -- End function
	.set _ZN9rocsparseL13kernel_nrminfILj1024E21rocsparse_complex_numIfEEEvmPKT0_PNS_15floating_traitsIS3_E6data_tEPKS8_.num_vgpr, 8
	.set _ZN9rocsparseL13kernel_nrminfILj1024E21rocsparse_complex_numIfEEEvmPKT0_PNS_15floating_traitsIS3_E6data_tEPKS8_.num_agpr, 0
	.set _ZN9rocsparseL13kernel_nrminfILj1024E21rocsparse_complex_numIfEEEvmPKT0_PNS_15floating_traitsIS3_E6data_tEPKS8_.numbered_sgpr, 7
	.set _ZN9rocsparseL13kernel_nrminfILj1024E21rocsparse_complex_numIfEEEvmPKT0_PNS_15floating_traitsIS3_E6data_tEPKS8_.num_named_barrier, 0
	.set _ZN9rocsparseL13kernel_nrminfILj1024E21rocsparse_complex_numIfEEEvmPKT0_PNS_15floating_traitsIS3_E6data_tEPKS8_.private_seg_size, 0
	.set _ZN9rocsparseL13kernel_nrminfILj1024E21rocsparse_complex_numIfEEEvmPKT0_PNS_15floating_traitsIS3_E6data_tEPKS8_.uses_vcc, 1
	.set _ZN9rocsparseL13kernel_nrminfILj1024E21rocsparse_complex_numIfEEEvmPKT0_PNS_15floating_traitsIS3_E6data_tEPKS8_.uses_flat_scratch, 0
	.set _ZN9rocsparseL13kernel_nrminfILj1024E21rocsparse_complex_numIfEEEvmPKT0_PNS_15floating_traitsIS3_E6data_tEPKS8_.has_dyn_sized_stack, 0
	.set _ZN9rocsparseL13kernel_nrminfILj1024E21rocsparse_complex_numIfEEEvmPKT0_PNS_15floating_traitsIS3_E6data_tEPKS8_.has_recursion, 0
	.set _ZN9rocsparseL13kernel_nrminfILj1024E21rocsparse_complex_numIfEEEvmPKT0_PNS_15floating_traitsIS3_E6data_tEPKS8_.has_indirect_call, 0
	.section	.AMDGPU.csdata,"",@progbits
; Kernel info:
; codeLenInByte = 1560
; TotalNumSgprs: 9
; NumVgprs: 8
; ScratchSize: 0
; MemoryBound: 0
; FloatMode: 240
; IeeeMode: 1
; LDSByteSize: 4096 bytes/workgroup (compile time only)
; SGPRBlocks: 0
; VGPRBlocks: 0
; NumSGPRsForWavesPerEU: 9
; NumVGPRsForWavesPerEU: 8
; NamedBarCnt: 0
; Occupancy: 16
; WaveLimiterHint : 0
; COMPUTE_PGM_RSRC2:SCRATCH_EN: 0
; COMPUTE_PGM_RSRC2:USER_SGPR: 2
; COMPUTE_PGM_RSRC2:TRAP_HANDLER: 0
; COMPUTE_PGM_RSRC2:TGID_X_EN: 1
; COMPUTE_PGM_RSRC2:TGID_Y_EN: 0
; COMPUTE_PGM_RSRC2:TGID_Z_EN: 0
; COMPUTE_PGM_RSRC2:TIDIG_COMP_CNT: 0
	.section	.text._ZN9rocsparseL18kernel_nrminf_diffILj1024E21rocsparse_complex_numIdEEEvmPKT0_S5_PNS_15floating_traitsIS3_E6data_tEPKS8_,"axG",@progbits,_ZN9rocsparseL18kernel_nrminf_diffILj1024E21rocsparse_complex_numIdEEEvmPKT0_S5_PNS_15floating_traitsIS3_E6data_tEPKS8_,comdat
	.globl	_ZN9rocsparseL18kernel_nrminf_diffILj1024E21rocsparse_complex_numIdEEEvmPKT0_S5_PNS_15floating_traitsIS3_E6data_tEPKS8_ ; -- Begin function _ZN9rocsparseL18kernel_nrminf_diffILj1024E21rocsparse_complex_numIdEEEvmPKT0_S5_PNS_15floating_traitsIS3_E6data_tEPKS8_
	.p2align	8
	.type	_ZN9rocsparseL18kernel_nrminf_diffILj1024E21rocsparse_complex_numIdEEEvmPKT0_S5_PNS_15floating_traitsIS3_E6data_tEPKS8_,@function
_ZN9rocsparseL18kernel_nrminf_diffILj1024E21rocsparse_complex_numIdEEEvmPKT0_S5_PNS_15floating_traitsIS3_E6data_tEPKS8_: ; @_ZN9rocsparseL18kernel_nrminf_diffILj1024E21rocsparse_complex_numIdEEEvmPKT0_S5_PNS_15floating_traitsIS3_E6data_tEPKS8_
; %bb.0:
	s_load_b64 s[2:3], s[0:1], 0x0
	s_bfe_u32 s4, ttmp6, 0x4000c
	s_and_b32 s5, ttmp6, 15
	s_add_co_i32 s4, s4, 1
	s_getreg_b32 s6, hwreg(HW_REG_IB_STS2, 6, 4)
	s_mul_i32 s4, ttmp9, s4
	v_mov_b32_e32 v3, 0
	s_add_co_i32 s5, s5, s4
	s_cmp_eq_u32 s6, 0
	v_mov_b64_e32 v[6:7], 0
	s_cselect_b32 s4, ttmp9, s5
	s_delay_alu instid0(SALU_CYCLE_1) | instskip(SKIP_1) | instid1(VALU_DEP_1)
	v_lshl_or_b32 v2, s4, 10, v0
	s_wait_kmcnt 0x0
	v_cmp_gt_u64_e32 vcc_lo, s[2:3], v[2:3]
	s_and_saveexec_b32 s2, vcc_lo
	s_cbranch_execz .LBB84_8
; %bb.1:
	s_load_b128 s[4:7], s[0:1], 0x8
	v_lshlrev_b64_e32 v[2:3], 4, v[2:3]
	s_mov_b32 s3, exec_lo
	s_wait_kmcnt 0x0
	s_delay_alu instid0(VALU_DEP_1)
	v_add_nc_u64_e32 v[10:11], s[6:7], v[2:3]
	v_add_nc_u64_e32 v[12:13], s[4:5], v[2:3]
	global_load_b128 v[2:5], v[10:11], off
	global_load_b128 v[6:9], v[12:13], off
	s_wait_loadcnt 0x0
	v_add_f64_e64 v[8:9], v[8:9], -v[4:5]
	s_delay_alu instid0(VALU_DEP_1) | instskip(SKIP_1) | instid1(VALU_DEP_1)
	v_xor_b32_e32 v4, 0x80000000, v9
	v_add_f64_e64 v[2:3], v[6:7], -v[2:3]
                                        ; implicit-def: $vgpr6_vgpr7
	v_cmp_gt_f64_e32 vcc_lo, 0, v[2:3]
	v_xor_b32_e32 v1, 0x80000000, v3
	s_delay_alu instid0(VALU_DEP_1) | instskip(SKIP_2) | instid1(VALU_DEP_1)
	v_cndmask_b32_e32 v3, v3, v1, vcc_lo
	v_cmp_gt_f64_e32 vcc_lo, 0, v[8:9]
	v_dual_cndmask_b32 v5, v9, v4 :: v_dual_mov_b32 v4, v8
	v_cmpx_ngt_f64_e32 v[2:3], v[4:5]
	s_xor_b32 s3, exec_lo, s3
	s_cbranch_execz .LBB84_5
; %bb.2:
	v_mov_b64_e32 v[6:7], 0
	s_mov_b32 s4, exec_lo
	v_cmpx_neq_f64_e32 0, v[8:9]
	s_cbranch_execz .LBB84_4
; %bb.3:
	v_div_scale_f64 v[6:7], null, v[4:5], v[4:5], v[2:3]
	v_div_scale_f64 v[12:13], vcc_lo, v[2:3], v[4:5], v[2:3]
	s_delay_alu instid0(VALU_DEP_2) | instskip(SKIP_1) | instid1(TRANS32_DEP_1)
	v_rcp_f64_e32 v[8:9], v[6:7]
	v_nop
	v_fma_f64 v[10:11], -v[6:7], v[8:9], 1.0
	s_delay_alu instid0(VALU_DEP_1) | instskip(NEXT) | instid1(VALU_DEP_1)
	v_fmac_f64_e32 v[8:9], v[8:9], v[10:11]
	v_fma_f64 v[10:11], -v[6:7], v[8:9], 1.0
	s_delay_alu instid0(VALU_DEP_1) | instskip(NEXT) | instid1(VALU_DEP_1)
	v_fmac_f64_e32 v[8:9], v[8:9], v[10:11]
	v_mul_f64_e32 v[10:11], v[12:13], v[8:9]
	s_delay_alu instid0(VALU_DEP_1) | instskip(NEXT) | instid1(VALU_DEP_1)
	v_fma_f64 v[6:7], -v[6:7], v[10:11], v[12:13]
	v_div_fmas_f64 v[6:7], v[6:7], v[8:9], v[10:11]
	s_delay_alu instid0(VALU_DEP_1) | instskip(NEXT) | instid1(VALU_DEP_1)
	v_div_fixup_f64 v[2:3], v[6:7], v[4:5], v[2:3]
	v_fma_f64 v[2:3], v[2:3], v[2:3], 1.0
	s_delay_alu instid0(VALU_DEP_1) | instskip(SKIP_1) | instid1(VALU_DEP_1)
	v_cmp_gt_f64_e32 vcc_lo, 0x10000000, v[2:3]
	v_cndmask_b32_e64 v1, 0, 0x100, vcc_lo
	v_ldexp_f64 v[2:3], v[2:3], v1
	v_cndmask_b32_e64 v1, 0, 0xffffff80, vcc_lo
	s_delay_alu instid0(VALU_DEP_2) | instskip(SKIP_1) | instid1(TRANS32_DEP_1)
	v_rsq_f64_e32 v[6:7], v[2:3]
	v_cmp_class_f64_e64 vcc_lo, v[2:3], 0x260
	v_mul_f64_e32 v[8:9], v[2:3], v[6:7]
	v_mul_f64_e32 v[6:7], 0.5, v[6:7]
	s_delay_alu instid0(VALU_DEP_1) | instskip(NEXT) | instid1(VALU_DEP_1)
	v_fma_f64 v[10:11], -v[6:7], v[8:9], 0.5
	v_fmac_f64_e32 v[8:9], v[8:9], v[10:11]
	v_fmac_f64_e32 v[6:7], v[6:7], v[10:11]
	s_delay_alu instid0(VALU_DEP_2) | instskip(NEXT) | instid1(VALU_DEP_1)
	v_fma_f64 v[10:11], -v[8:9], v[8:9], v[2:3]
	v_fmac_f64_e32 v[8:9], v[10:11], v[6:7]
	s_delay_alu instid0(VALU_DEP_1) | instskip(NEXT) | instid1(VALU_DEP_1)
	v_fma_f64 v[10:11], -v[8:9], v[8:9], v[2:3]
	v_fmac_f64_e32 v[8:9], v[10:11], v[6:7]
	s_delay_alu instid0(VALU_DEP_1) | instskip(NEXT) | instid1(VALU_DEP_1)
	v_ldexp_f64 v[6:7], v[8:9], v1
	v_dual_cndmask_b32 v3, v7, v3 :: v_dual_cndmask_b32 v2, v6, v2
	s_delay_alu instid0(VALU_DEP_1)
	v_mul_f64_e32 v[6:7], v[4:5], v[2:3]
.LBB84_4:
	s_or_b32 exec_lo, exec_lo, s4
                                        ; implicit-def: $vgpr2_vgpr3
                                        ; implicit-def: $vgpr4_vgpr5
.LBB84_5:
	s_and_not1_saveexec_b32 s3, s3
	s_cbranch_execz .LBB84_7
; %bb.6:
	v_div_scale_f64 v[6:7], null, v[2:3], v[2:3], v[4:5]
	v_div_scale_f64 v[12:13], vcc_lo, v[4:5], v[2:3], v[4:5]
	s_delay_alu instid0(VALU_DEP_2) | instskip(SKIP_1) | instid1(TRANS32_DEP_1)
	v_rcp_f64_e32 v[8:9], v[6:7]
	v_nop
	v_fma_f64 v[10:11], -v[6:7], v[8:9], 1.0
	s_delay_alu instid0(VALU_DEP_1) | instskip(NEXT) | instid1(VALU_DEP_1)
	v_fmac_f64_e32 v[8:9], v[8:9], v[10:11]
	v_fma_f64 v[10:11], -v[6:7], v[8:9], 1.0
	s_delay_alu instid0(VALU_DEP_1) | instskip(NEXT) | instid1(VALU_DEP_1)
	v_fmac_f64_e32 v[8:9], v[8:9], v[10:11]
	v_mul_f64_e32 v[10:11], v[12:13], v[8:9]
	s_delay_alu instid0(VALU_DEP_1) | instskip(NEXT) | instid1(VALU_DEP_1)
	v_fma_f64 v[6:7], -v[6:7], v[10:11], v[12:13]
	v_div_fmas_f64 v[6:7], v[6:7], v[8:9], v[10:11]
	s_delay_alu instid0(VALU_DEP_1) | instskip(NEXT) | instid1(VALU_DEP_1)
	v_div_fixup_f64 v[4:5], v[6:7], v[2:3], v[4:5]
	v_fma_f64 v[4:5], v[4:5], v[4:5], 1.0
	s_delay_alu instid0(VALU_DEP_1) | instskip(SKIP_1) | instid1(VALU_DEP_1)
	v_cmp_gt_f64_e32 vcc_lo, 0x10000000, v[4:5]
	v_cndmask_b32_e64 v1, 0, 0x100, vcc_lo
	v_ldexp_f64 v[4:5], v[4:5], v1
	v_cndmask_b32_e64 v1, 0, 0xffffff80, vcc_lo
	s_delay_alu instid0(VALU_DEP_2) | instskip(SKIP_1) | instid1(TRANS32_DEP_1)
	v_rsq_f64_e32 v[6:7], v[4:5]
	v_cmp_class_f64_e64 vcc_lo, v[4:5], 0x260
	v_mul_f64_e32 v[8:9], v[4:5], v[6:7]
	v_mul_f64_e32 v[6:7], 0.5, v[6:7]
	s_delay_alu instid0(VALU_DEP_1) | instskip(NEXT) | instid1(VALU_DEP_1)
	v_fma_f64 v[10:11], -v[6:7], v[8:9], 0.5
	v_fmac_f64_e32 v[8:9], v[8:9], v[10:11]
	v_fmac_f64_e32 v[6:7], v[6:7], v[10:11]
	s_delay_alu instid0(VALU_DEP_2) | instskip(NEXT) | instid1(VALU_DEP_1)
	v_fma_f64 v[10:11], -v[8:9], v[8:9], v[4:5]
	v_fmac_f64_e32 v[8:9], v[10:11], v[6:7]
	s_delay_alu instid0(VALU_DEP_1) | instskip(NEXT) | instid1(VALU_DEP_1)
	v_fma_f64 v[10:11], -v[8:9], v[8:9], v[4:5]
	v_fmac_f64_e32 v[8:9], v[10:11], v[6:7]
	s_delay_alu instid0(VALU_DEP_1) | instskip(NEXT) | instid1(VALU_DEP_1)
	v_ldexp_f64 v[6:7], v[8:9], v1
	v_dual_cndmask_b32 v5, v7, v5 :: v_dual_cndmask_b32 v4, v6, v4
	s_delay_alu instid0(VALU_DEP_1)
	v_mul_f64_e32 v[6:7], v[2:3], v[4:5]
.LBB84_7:
	s_or_b32 exec_lo, exec_lo, s3
.LBB84_8:
	s_delay_alu instid0(SALU_CYCLE_1)
	s_or_b32 exec_lo, exec_lo, s2
	v_lshlrev_b32_e32 v1, 3, v0
	s_mov_b32 s2, exec_lo
	ds_store_b64 v1, v[6:7]
	s_wait_dscnt 0x0
	s_barrier_signal -1
	s_barrier_wait -1
	v_cmpx_gt_u32_e32 0x200, v0
	s_cbranch_execz .LBB84_10
; %bb.9:
	ds_load_2addr_stride64_b64 v[2:5], v1 offset1:8
	s_wait_dscnt 0x0
	v_cmp_lt_f64_e32 vcc_lo, v[2:3], v[4:5]
	v_dual_cndmask_b32 v3, v3, v5 :: v_dual_cndmask_b32 v2, v2, v4
	ds_store_b64 v1, v[2:3]
.LBB84_10:
	s_or_b32 exec_lo, exec_lo, s2
	s_delay_alu instid0(SALU_CYCLE_1)
	s_mov_b32 s2, exec_lo
	s_wait_dscnt 0x0
	s_barrier_signal -1
	s_barrier_wait -1
	v_cmpx_gt_u32_e32 0x100, v0
	s_cbranch_execz .LBB84_12
; %bb.11:
	ds_load_2addr_stride64_b64 v[2:5], v1 offset1:4
	s_wait_dscnt 0x0
	v_cmp_lt_f64_e32 vcc_lo, v[2:3], v[4:5]
	v_dual_cndmask_b32 v3, v3, v5 :: v_dual_cndmask_b32 v2, v2, v4
	ds_store_b64 v1, v[2:3]
.LBB84_12:
	s_or_b32 exec_lo, exec_lo, s2
	s_delay_alu instid0(SALU_CYCLE_1)
	s_mov_b32 s2, exec_lo
	;; [unrolled: 15-line block ×4, first 2 shown]
	s_wait_dscnt 0x0
	s_barrier_signal -1
	s_barrier_wait -1
	v_cmpx_gt_u32_e32 32, v0
	s_cbranch_execz .LBB84_18
; %bb.17:
	ds_load_2addr_b64 v[2:5], v1 offset1:32
	s_wait_dscnt 0x0
	v_cmp_lt_f64_e32 vcc_lo, v[2:3], v[4:5]
	v_dual_cndmask_b32 v3, v3, v5 :: v_dual_cndmask_b32 v2, v2, v4
	ds_store_b64 v1, v[2:3]
.LBB84_18:
	s_or_b32 exec_lo, exec_lo, s2
	s_delay_alu instid0(SALU_CYCLE_1)
	s_mov_b32 s2, exec_lo
	s_wait_dscnt 0x0
	s_barrier_signal -1
	s_barrier_wait -1
	v_cmpx_gt_u32_e32 16, v0
	s_cbranch_execz .LBB84_20
; %bb.19:
	ds_load_2addr_b64 v[2:5], v1 offset1:16
	s_wait_dscnt 0x0
	v_cmp_lt_f64_e32 vcc_lo, v[2:3], v[4:5]
	v_dual_cndmask_b32 v3, v3, v5 :: v_dual_cndmask_b32 v2, v2, v4
	ds_store_b64 v1, v[2:3]
.LBB84_20:
	s_or_b32 exec_lo, exec_lo, s2
	s_delay_alu instid0(SALU_CYCLE_1)
	s_mov_b32 s2, exec_lo
	;; [unrolled: 15-line block ×4, first 2 shown]
	s_wait_dscnt 0x0
	s_barrier_signal -1
	s_barrier_wait -1
	v_cmpx_gt_u32_e32 2, v0
	s_cbranch_execz .LBB84_26
; %bb.25:
	ds_load_2addr_b64 v[2:5], v1 offset1:2
	s_wait_dscnt 0x0
	v_cmp_lt_f64_e32 vcc_lo, v[2:3], v[4:5]
	v_dual_cndmask_b32 v3, v3, v5 :: v_dual_cndmask_b32 v2, v2, v4
	ds_store_b64 v1, v[2:3]
.LBB84_26:
	s_or_b32 exec_lo, exec_lo, s2
	v_cmp_eq_u32_e32 vcc_lo, 0, v0
	s_wait_dscnt 0x0
	s_barrier_signal -1
	s_barrier_wait -1
	s_and_saveexec_b32 s3, vcc_lo
	s_cbranch_execz .LBB84_28
; %bb.27:
	v_mov_b32_e32 v4, 0
	ds_load_b128 v[0:3], v4
	s_wait_dscnt 0x0
	v_cmp_lt_f64_e64 s2, v[0:1], v[2:3]
	s_delay_alu instid0(VALU_DEP_1)
	v_dual_cndmask_b32 v1, v1, v3, s2 :: v_dual_cndmask_b32 v0, v0, v2, s2
	ds_store_b64 v4, v[0:1]
.LBB84_28:
	s_or_b32 exec_lo, exec_lo, s3
	s_wait_dscnt 0x0
	s_barrier_signal -1
	s_barrier_wait -1
	s_and_saveexec_b32 s2, vcc_lo
	s_cbranch_execz .LBB84_33
; %bb.29:
	v_mov_b32_e32 v0, 0
	s_load_b64 s[2:3], s[0:1], 0x20
	ds_load_b64 v[0:1], v0
	s_wait_kmcnt 0x0
	s_cmp_eq_u64 s[2:3], 0
	s_cbranch_scc1 .LBB84_31
; %bb.30:
	s_load_b64 s[2:3], s[2:3], 0x0
	s_wait_dscnt 0x0
	s_wait_kmcnt 0x0
	v_div_scale_f64 v[2:3], null, s[2:3], s[2:3], v[0:1]
	s_delay_alu instid0(VALU_DEP_1) | instskip(SKIP_1) | instid1(TRANS32_DEP_1)
	v_rcp_f64_e32 v[4:5], v[2:3]
	v_nop
	v_fma_f64 v[6:7], -v[2:3], v[4:5], 1.0
	s_delay_alu instid0(VALU_DEP_1) | instskip(NEXT) | instid1(VALU_DEP_1)
	v_fmac_f64_e32 v[4:5], v[4:5], v[6:7]
	v_fma_f64 v[6:7], -v[2:3], v[4:5], 1.0
	s_delay_alu instid0(VALU_DEP_1) | instskip(SKIP_1) | instid1(VALU_DEP_1)
	v_fmac_f64_e32 v[4:5], v[4:5], v[6:7]
	v_div_scale_f64 v[6:7], vcc_lo, v[0:1], s[2:3], v[0:1]
	v_mul_f64_e32 v[8:9], v[6:7], v[4:5]
	s_delay_alu instid0(VALU_DEP_1) | instskip(NEXT) | instid1(VALU_DEP_1)
	v_fma_f64 v[2:3], -v[2:3], v[8:9], v[6:7]
	v_div_fmas_f64 v[2:3], v[2:3], v[4:5], v[8:9]
	s_delay_alu instid0(VALU_DEP_1)
	v_div_fixup_f64 v[0:1], v[2:3], s[2:3], v[0:1]
.LBB84_31:
	v_mbcnt_lo_u32_b32 v2, exec_lo, 0
	s_delay_alu instid0(VALU_DEP_1)
	v_cmp_eq_u32_e32 vcc_lo, 0, v2
	s_and_b32 exec_lo, exec_lo, vcc_lo
	s_cbranch_execz .LBB84_33
; %bb.32:
	s_load_b64 s[0:1], s[0:1], 0x18
	v_mov_b32_e32 v2, 0
	s_wait_xcnt 0x0
	s_wait_dscnt 0x0
	s_wait_kmcnt 0x0
	global_atomic_max_num_f64 v2, v[0:1], s[0:1] scope:SCOPE_DEV
.LBB84_33:
	s_endpgm
	.section	.rodata,"a",@progbits
	.p2align	6, 0x0
	.amdhsa_kernel _ZN9rocsparseL18kernel_nrminf_diffILj1024E21rocsparse_complex_numIdEEEvmPKT0_S5_PNS_15floating_traitsIS3_E6data_tEPKS8_
		.amdhsa_group_segment_fixed_size 8192
		.amdhsa_private_segment_fixed_size 0
		.amdhsa_kernarg_size 40
		.amdhsa_user_sgpr_count 2
		.amdhsa_user_sgpr_dispatch_ptr 0
		.amdhsa_user_sgpr_queue_ptr 0
		.amdhsa_user_sgpr_kernarg_segment_ptr 1
		.amdhsa_user_sgpr_dispatch_id 0
		.amdhsa_user_sgpr_kernarg_preload_length 0
		.amdhsa_user_sgpr_kernarg_preload_offset 0
		.amdhsa_user_sgpr_private_segment_size 0
		.amdhsa_wavefront_size32 1
		.amdhsa_uses_dynamic_stack 0
		.amdhsa_enable_private_segment 0
		.amdhsa_system_sgpr_workgroup_id_x 1
		.amdhsa_system_sgpr_workgroup_id_y 0
		.amdhsa_system_sgpr_workgroup_id_z 0
		.amdhsa_system_sgpr_workgroup_info 0
		.amdhsa_system_vgpr_workitem_id 0
		.amdhsa_next_free_vgpr 14
		.amdhsa_next_free_sgpr 8
		.amdhsa_named_barrier_count 0
		.amdhsa_reserve_vcc 1
		.amdhsa_float_round_mode_32 0
		.amdhsa_float_round_mode_16_64 0
		.amdhsa_float_denorm_mode_32 3
		.amdhsa_float_denorm_mode_16_64 3
		.amdhsa_fp16_overflow 0
		.amdhsa_memory_ordered 1
		.amdhsa_forward_progress 1
		.amdhsa_inst_pref_size 13
		.amdhsa_round_robin_scheduling 0
		.amdhsa_exception_fp_ieee_invalid_op 0
		.amdhsa_exception_fp_denorm_src 0
		.amdhsa_exception_fp_ieee_div_zero 0
		.amdhsa_exception_fp_ieee_overflow 0
		.amdhsa_exception_fp_ieee_underflow 0
		.amdhsa_exception_fp_ieee_inexact 0
		.amdhsa_exception_int_div_zero 0
	.end_amdhsa_kernel
	.section	.text._ZN9rocsparseL18kernel_nrminf_diffILj1024E21rocsparse_complex_numIdEEEvmPKT0_S5_PNS_15floating_traitsIS3_E6data_tEPKS8_,"axG",@progbits,_ZN9rocsparseL18kernel_nrminf_diffILj1024E21rocsparse_complex_numIdEEEvmPKT0_S5_PNS_15floating_traitsIS3_E6data_tEPKS8_,comdat
.Lfunc_end84:
	.size	_ZN9rocsparseL18kernel_nrminf_diffILj1024E21rocsparse_complex_numIdEEEvmPKT0_S5_PNS_15floating_traitsIS3_E6data_tEPKS8_, .Lfunc_end84-_ZN9rocsparseL18kernel_nrminf_diffILj1024E21rocsparse_complex_numIdEEEvmPKT0_S5_PNS_15floating_traitsIS3_E6data_tEPKS8_
                                        ; -- End function
	.set _ZN9rocsparseL18kernel_nrminf_diffILj1024E21rocsparse_complex_numIdEEEvmPKT0_S5_PNS_15floating_traitsIS3_E6data_tEPKS8_.num_vgpr, 14
	.set _ZN9rocsparseL18kernel_nrminf_diffILj1024E21rocsparse_complex_numIdEEEvmPKT0_S5_PNS_15floating_traitsIS3_E6data_tEPKS8_.num_agpr, 0
	.set _ZN9rocsparseL18kernel_nrminf_diffILj1024E21rocsparse_complex_numIdEEEvmPKT0_S5_PNS_15floating_traitsIS3_E6data_tEPKS8_.numbered_sgpr, 8
	.set _ZN9rocsparseL18kernel_nrminf_diffILj1024E21rocsparse_complex_numIdEEEvmPKT0_S5_PNS_15floating_traitsIS3_E6data_tEPKS8_.num_named_barrier, 0
	.set _ZN9rocsparseL18kernel_nrminf_diffILj1024E21rocsparse_complex_numIdEEEvmPKT0_S5_PNS_15floating_traitsIS3_E6data_tEPKS8_.private_seg_size, 0
	.set _ZN9rocsparseL18kernel_nrminf_diffILj1024E21rocsparse_complex_numIdEEEvmPKT0_S5_PNS_15floating_traitsIS3_E6data_tEPKS8_.uses_vcc, 1
	.set _ZN9rocsparseL18kernel_nrminf_diffILj1024E21rocsparse_complex_numIdEEEvmPKT0_S5_PNS_15floating_traitsIS3_E6data_tEPKS8_.uses_flat_scratch, 0
	.set _ZN9rocsparseL18kernel_nrminf_diffILj1024E21rocsparse_complex_numIdEEEvmPKT0_S5_PNS_15floating_traitsIS3_E6data_tEPKS8_.has_dyn_sized_stack, 0
	.set _ZN9rocsparseL18kernel_nrminf_diffILj1024E21rocsparse_complex_numIdEEEvmPKT0_S5_PNS_15floating_traitsIS3_E6data_tEPKS8_.has_recursion, 0
	.set _ZN9rocsparseL18kernel_nrminf_diffILj1024E21rocsparse_complex_numIdEEEvmPKT0_S5_PNS_15floating_traitsIS3_E6data_tEPKS8_.has_indirect_call, 0
	.section	.AMDGPU.csdata,"",@progbits
; Kernel info:
; codeLenInByte = 1664
; TotalNumSgprs: 10
; NumVgprs: 14
; ScratchSize: 0
; MemoryBound: 1
; FloatMode: 240
; IeeeMode: 1
; LDSByteSize: 8192 bytes/workgroup (compile time only)
; SGPRBlocks: 0
; VGPRBlocks: 0
; NumSGPRsForWavesPerEU: 10
; NumVGPRsForWavesPerEU: 14
; NamedBarCnt: 0
; Occupancy: 16
; WaveLimiterHint : 0
; COMPUTE_PGM_RSRC2:SCRATCH_EN: 0
; COMPUTE_PGM_RSRC2:USER_SGPR: 2
; COMPUTE_PGM_RSRC2:TRAP_HANDLER: 0
; COMPUTE_PGM_RSRC2:TGID_X_EN: 1
; COMPUTE_PGM_RSRC2:TGID_Y_EN: 0
; COMPUTE_PGM_RSRC2:TGID_Z_EN: 0
; COMPUTE_PGM_RSRC2:TIDIG_COMP_CNT: 0
	.section	.text._ZN9rocsparseL13kernel_nrminfILj1024E21rocsparse_complex_numIdEEEvmPKT0_PNS_15floating_traitsIS3_E6data_tEPKS8_,"axG",@progbits,_ZN9rocsparseL13kernel_nrminfILj1024E21rocsparse_complex_numIdEEEvmPKT0_PNS_15floating_traitsIS3_E6data_tEPKS8_,comdat
	.globl	_ZN9rocsparseL13kernel_nrminfILj1024E21rocsparse_complex_numIdEEEvmPKT0_PNS_15floating_traitsIS3_E6data_tEPKS8_ ; -- Begin function _ZN9rocsparseL13kernel_nrminfILj1024E21rocsparse_complex_numIdEEEvmPKT0_PNS_15floating_traitsIS3_E6data_tEPKS8_
	.p2align	8
	.type	_ZN9rocsparseL13kernel_nrminfILj1024E21rocsparse_complex_numIdEEEvmPKT0_PNS_15floating_traitsIS3_E6data_tEPKS8_,@function
_ZN9rocsparseL13kernel_nrminfILj1024E21rocsparse_complex_numIdEEEvmPKT0_PNS_15floating_traitsIS3_E6data_tEPKS8_: ; @_ZN9rocsparseL13kernel_nrminfILj1024E21rocsparse_complex_numIdEEEvmPKT0_PNS_15floating_traitsIS3_E6data_tEPKS8_
; %bb.0:
	s_load_b64 s[2:3], s[0:1], 0x0
	s_bfe_u32 s4, ttmp6, 0x4000c
	s_and_b32 s5, ttmp6, 15
	s_add_co_i32 s4, s4, 1
	s_getreg_b32 s6, hwreg(HW_REG_IB_STS2, 6, 4)
	s_mul_i32 s4, ttmp9, s4
	v_mov_b32_e32 v3, 0
	s_add_co_i32 s5, s5, s4
	s_cmp_eq_u32 s6, 0
	v_mov_b64_e32 v[8:9], 0
	s_cselect_b32 s4, ttmp9, s5
	s_delay_alu instid0(SALU_CYCLE_1) | instskip(SKIP_1) | instid1(VALU_DEP_1)
	v_lshl_or_b32 v2, s4, 10, v0
	s_wait_kmcnt 0x0
	v_cmp_gt_u64_e32 vcc_lo, s[2:3], v[2:3]
	s_and_saveexec_b32 s2, vcc_lo
	s_cbranch_execz .LBB85_8
; %bb.1:
	s_load_b64 s[4:5], s[0:1], 0x8
	s_mov_b32 s3, exec_lo
                                        ; implicit-def: $vgpr8_vgpr9
	s_wait_kmcnt 0x0
	v_lshl_add_u64 v[2:3], v[2:3], 4, s[4:5]
	global_load_b128 v[2:5], v[2:3], off
	s_wait_loadcnt 0x0
	v_cmp_gt_f64_e32 vcc_lo, 0, v[2:3]
	v_xor_b32_e32 v1, 0x80000000, v3
	v_xor_b32_e32 v6, 0x80000000, v5
	s_delay_alu instid0(VALU_DEP_2) | instskip(SKIP_1) | instid1(VALU_DEP_3)
	v_cndmask_b32_e32 v3, v3, v1, vcc_lo
	v_cmp_gt_f64_e32 vcc_lo, 0, v[4:5]
	v_dual_cndmask_b32 v7, v5, v6 :: v_dual_mov_b32 v6, v4
	s_delay_alu instid0(VALU_DEP_1)
	v_cmpx_ngt_f64_e32 v[2:3], v[6:7]
	s_xor_b32 s3, exec_lo, s3
	s_cbranch_execz .LBB85_5
; %bb.2:
	v_mov_b64_e32 v[8:9], 0
	s_mov_b32 s4, exec_lo
	v_cmpx_neq_f64_e32 0, v[4:5]
	s_cbranch_execz .LBB85_4
; %bb.3:
	v_div_scale_f64 v[4:5], null, v[6:7], v[6:7], v[2:3]
	v_div_scale_f64 v[12:13], vcc_lo, v[2:3], v[6:7], v[2:3]
	s_delay_alu instid0(VALU_DEP_2) | instskip(SKIP_1) | instid1(TRANS32_DEP_1)
	v_rcp_f64_e32 v[8:9], v[4:5]
	v_nop
	v_fma_f64 v[10:11], -v[4:5], v[8:9], 1.0
	s_delay_alu instid0(VALU_DEP_1) | instskip(NEXT) | instid1(VALU_DEP_1)
	v_fmac_f64_e32 v[8:9], v[8:9], v[10:11]
	v_fma_f64 v[10:11], -v[4:5], v[8:9], 1.0
	s_delay_alu instid0(VALU_DEP_1) | instskip(NEXT) | instid1(VALU_DEP_1)
	v_fmac_f64_e32 v[8:9], v[8:9], v[10:11]
	v_mul_f64_e32 v[10:11], v[12:13], v[8:9]
	s_delay_alu instid0(VALU_DEP_1) | instskip(NEXT) | instid1(VALU_DEP_1)
	v_fma_f64 v[4:5], -v[4:5], v[10:11], v[12:13]
	v_div_fmas_f64 v[4:5], v[4:5], v[8:9], v[10:11]
	s_delay_alu instid0(VALU_DEP_1) | instskip(NEXT) | instid1(VALU_DEP_1)
	v_div_fixup_f64 v[2:3], v[4:5], v[6:7], v[2:3]
	v_fma_f64 v[2:3], v[2:3], v[2:3], 1.0
	s_delay_alu instid0(VALU_DEP_1) | instskip(SKIP_1) | instid1(VALU_DEP_1)
	v_cmp_gt_f64_e32 vcc_lo, 0x10000000, v[2:3]
	v_cndmask_b32_e64 v1, 0, 0x100, vcc_lo
	v_ldexp_f64 v[2:3], v[2:3], v1
	v_cndmask_b32_e64 v1, 0, 0xffffff80, vcc_lo
	s_delay_alu instid0(VALU_DEP_2) | instskip(SKIP_1) | instid1(TRANS32_DEP_1)
	v_rsq_f64_e32 v[4:5], v[2:3]
	v_cmp_class_f64_e64 vcc_lo, v[2:3], 0x260
	v_mul_f64_e32 v[8:9], v[2:3], v[4:5]
	v_mul_f64_e32 v[4:5], 0.5, v[4:5]
	s_delay_alu instid0(VALU_DEP_1) | instskip(NEXT) | instid1(VALU_DEP_1)
	v_fma_f64 v[10:11], -v[4:5], v[8:9], 0.5
	v_fmac_f64_e32 v[8:9], v[8:9], v[10:11]
	v_fmac_f64_e32 v[4:5], v[4:5], v[10:11]
	s_delay_alu instid0(VALU_DEP_2) | instskip(NEXT) | instid1(VALU_DEP_1)
	v_fma_f64 v[10:11], -v[8:9], v[8:9], v[2:3]
	v_fmac_f64_e32 v[8:9], v[10:11], v[4:5]
	s_delay_alu instid0(VALU_DEP_1) | instskip(NEXT) | instid1(VALU_DEP_1)
	v_fma_f64 v[10:11], -v[8:9], v[8:9], v[2:3]
	v_fmac_f64_e32 v[8:9], v[10:11], v[4:5]
	s_delay_alu instid0(VALU_DEP_1) | instskip(NEXT) | instid1(VALU_DEP_1)
	v_ldexp_f64 v[4:5], v[8:9], v1
	v_dual_cndmask_b32 v3, v5, v3 :: v_dual_cndmask_b32 v2, v4, v2
	s_delay_alu instid0(VALU_DEP_1)
	v_mul_f64_e32 v[8:9], v[6:7], v[2:3]
.LBB85_4:
	s_or_b32 exec_lo, exec_lo, s4
                                        ; implicit-def: $vgpr2_vgpr3
                                        ; implicit-def: $vgpr6_vgpr7
.LBB85_5:
	s_and_not1_saveexec_b32 s3, s3
	s_cbranch_execz .LBB85_7
; %bb.6:
	v_div_scale_f64 v[4:5], null, v[2:3], v[2:3], v[6:7]
	v_div_scale_f64 v[12:13], vcc_lo, v[6:7], v[2:3], v[6:7]
	s_delay_alu instid0(VALU_DEP_2) | instskip(SKIP_1) | instid1(TRANS32_DEP_1)
	v_rcp_f64_e32 v[8:9], v[4:5]
	v_nop
	v_fma_f64 v[10:11], -v[4:5], v[8:9], 1.0
	s_delay_alu instid0(VALU_DEP_1) | instskip(NEXT) | instid1(VALU_DEP_1)
	v_fmac_f64_e32 v[8:9], v[8:9], v[10:11]
	v_fma_f64 v[10:11], -v[4:5], v[8:9], 1.0
	s_delay_alu instid0(VALU_DEP_1) | instskip(NEXT) | instid1(VALU_DEP_1)
	v_fmac_f64_e32 v[8:9], v[8:9], v[10:11]
	v_mul_f64_e32 v[10:11], v[12:13], v[8:9]
	s_delay_alu instid0(VALU_DEP_1) | instskip(NEXT) | instid1(VALU_DEP_1)
	v_fma_f64 v[4:5], -v[4:5], v[10:11], v[12:13]
	v_div_fmas_f64 v[4:5], v[4:5], v[8:9], v[10:11]
	s_delay_alu instid0(VALU_DEP_1) | instskip(NEXT) | instid1(VALU_DEP_1)
	v_div_fixup_f64 v[4:5], v[4:5], v[2:3], v[6:7]
	v_fma_f64 v[4:5], v[4:5], v[4:5], 1.0
	s_delay_alu instid0(VALU_DEP_1) | instskip(SKIP_1) | instid1(VALU_DEP_1)
	v_cmp_gt_f64_e32 vcc_lo, 0x10000000, v[4:5]
	v_cndmask_b32_e64 v1, 0, 0x100, vcc_lo
	v_ldexp_f64 v[4:5], v[4:5], v1
	v_cndmask_b32_e64 v1, 0, 0xffffff80, vcc_lo
	s_delay_alu instid0(VALU_DEP_2) | instskip(SKIP_1) | instid1(TRANS32_DEP_1)
	v_rsq_f64_e32 v[6:7], v[4:5]
	v_cmp_class_f64_e64 vcc_lo, v[4:5], 0x260
	v_mul_f64_e32 v[8:9], v[4:5], v[6:7]
	v_mul_f64_e32 v[6:7], 0.5, v[6:7]
	s_delay_alu instid0(VALU_DEP_1) | instskip(NEXT) | instid1(VALU_DEP_1)
	v_fma_f64 v[10:11], -v[6:7], v[8:9], 0.5
	v_fmac_f64_e32 v[8:9], v[8:9], v[10:11]
	v_fmac_f64_e32 v[6:7], v[6:7], v[10:11]
	s_delay_alu instid0(VALU_DEP_2) | instskip(NEXT) | instid1(VALU_DEP_1)
	v_fma_f64 v[10:11], -v[8:9], v[8:9], v[4:5]
	v_fmac_f64_e32 v[8:9], v[10:11], v[6:7]
	s_delay_alu instid0(VALU_DEP_1) | instskip(NEXT) | instid1(VALU_DEP_1)
	v_fma_f64 v[10:11], -v[8:9], v[8:9], v[4:5]
	v_fmac_f64_e32 v[8:9], v[10:11], v[6:7]
	s_delay_alu instid0(VALU_DEP_1) | instskip(NEXT) | instid1(VALU_DEP_1)
	v_ldexp_f64 v[6:7], v[8:9], v1
	v_dual_cndmask_b32 v5, v7, v5 :: v_dual_cndmask_b32 v4, v6, v4
	s_delay_alu instid0(VALU_DEP_1)
	v_mul_f64_e32 v[8:9], v[2:3], v[4:5]
.LBB85_7:
	s_or_b32 exec_lo, exec_lo, s3
.LBB85_8:
	s_delay_alu instid0(SALU_CYCLE_1)
	s_or_b32 exec_lo, exec_lo, s2
	v_lshlrev_b32_e32 v1, 3, v0
	s_mov_b32 s2, exec_lo
	ds_store_b64 v1, v[8:9]
	s_wait_dscnt 0x0
	s_barrier_signal -1
	s_barrier_wait -1
	v_cmpx_gt_u32_e32 0x200, v0
	s_cbranch_execz .LBB85_10
; %bb.9:
	ds_load_2addr_stride64_b64 v[2:5], v1 offset1:8
	s_wait_dscnt 0x0
	v_cmp_lt_f64_e32 vcc_lo, v[2:3], v[4:5]
	v_dual_cndmask_b32 v3, v3, v5 :: v_dual_cndmask_b32 v2, v2, v4
	ds_store_b64 v1, v[2:3]
.LBB85_10:
	s_or_b32 exec_lo, exec_lo, s2
	s_delay_alu instid0(SALU_CYCLE_1)
	s_mov_b32 s2, exec_lo
	s_wait_dscnt 0x0
	s_barrier_signal -1
	s_barrier_wait -1
	v_cmpx_gt_u32_e32 0x100, v0
	s_cbranch_execz .LBB85_12
; %bb.11:
	ds_load_2addr_stride64_b64 v[2:5], v1 offset1:4
	s_wait_dscnt 0x0
	v_cmp_lt_f64_e32 vcc_lo, v[2:3], v[4:5]
	v_dual_cndmask_b32 v3, v3, v5 :: v_dual_cndmask_b32 v2, v2, v4
	ds_store_b64 v1, v[2:3]
.LBB85_12:
	s_or_b32 exec_lo, exec_lo, s2
	s_delay_alu instid0(SALU_CYCLE_1)
	s_mov_b32 s2, exec_lo
	;; [unrolled: 15-line block ×4, first 2 shown]
	s_wait_dscnt 0x0
	s_barrier_signal -1
	s_barrier_wait -1
	v_cmpx_gt_u32_e32 32, v0
	s_cbranch_execz .LBB85_18
; %bb.17:
	ds_load_2addr_b64 v[2:5], v1 offset1:32
	s_wait_dscnt 0x0
	v_cmp_lt_f64_e32 vcc_lo, v[2:3], v[4:5]
	v_dual_cndmask_b32 v3, v3, v5 :: v_dual_cndmask_b32 v2, v2, v4
	ds_store_b64 v1, v[2:3]
.LBB85_18:
	s_or_b32 exec_lo, exec_lo, s2
	s_delay_alu instid0(SALU_CYCLE_1)
	s_mov_b32 s2, exec_lo
	s_wait_dscnt 0x0
	s_barrier_signal -1
	s_barrier_wait -1
	v_cmpx_gt_u32_e32 16, v0
	s_cbranch_execz .LBB85_20
; %bb.19:
	ds_load_2addr_b64 v[2:5], v1 offset1:16
	s_wait_dscnt 0x0
	v_cmp_lt_f64_e32 vcc_lo, v[2:3], v[4:5]
	v_dual_cndmask_b32 v3, v3, v5 :: v_dual_cndmask_b32 v2, v2, v4
	ds_store_b64 v1, v[2:3]
.LBB85_20:
	s_or_b32 exec_lo, exec_lo, s2
	s_delay_alu instid0(SALU_CYCLE_1)
	s_mov_b32 s2, exec_lo
	;; [unrolled: 15-line block ×4, first 2 shown]
	s_wait_dscnt 0x0
	s_barrier_signal -1
	s_barrier_wait -1
	v_cmpx_gt_u32_e32 2, v0
	s_cbranch_execz .LBB85_26
; %bb.25:
	ds_load_2addr_b64 v[2:5], v1 offset1:2
	s_wait_dscnt 0x0
	v_cmp_lt_f64_e32 vcc_lo, v[2:3], v[4:5]
	v_dual_cndmask_b32 v3, v3, v5 :: v_dual_cndmask_b32 v2, v2, v4
	ds_store_b64 v1, v[2:3]
.LBB85_26:
	s_or_b32 exec_lo, exec_lo, s2
	v_cmp_eq_u32_e32 vcc_lo, 0, v0
	s_wait_dscnt 0x0
	s_barrier_signal -1
	s_barrier_wait -1
	s_and_saveexec_b32 s3, vcc_lo
	s_cbranch_execz .LBB85_28
; %bb.27:
	v_mov_b32_e32 v4, 0
	ds_load_b128 v[0:3], v4
	s_wait_dscnt 0x0
	v_cmp_lt_f64_e64 s2, v[0:1], v[2:3]
	s_delay_alu instid0(VALU_DEP_1)
	v_dual_cndmask_b32 v1, v1, v3, s2 :: v_dual_cndmask_b32 v0, v0, v2, s2
	ds_store_b64 v4, v[0:1]
.LBB85_28:
	s_or_b32 exec_lo, exec_lo, s3
	s_wait_dscnt 0x0
	s_barrier_signal -1
	s_barrier_wait -1
	s_and_saveexec_b32 s2, vcc_lo
	s_cbranch_execz .LBB85_33
; %bb.29:
	v_mov_b32_e32 v0, 0
	s_load_b64 s[2:3], s[0:1], 0x18
	ds_load_b64 v[0:1], v0
	s_wait_kmcnt 0x0
	s_cmp_eq_u64 s[2:3], 0
	s_cbranch_scc1 .LBB85_31
; %bb.30:
	s_load_b64 s[2:3], s[2:3], 0x0
	s_wait_dscnt 0x0
	s_wait_kmcnt 0x0
	v_div_scale_f64 v[2:3], null, s[2:3], s[2:3], v[0:1]
	s_delay_alu instid0(VALU_DEP_1) | instskip(SKIP_1) | instid1(TRANS32_DEP_1)
	v_rcp_f64_e32 v[4:5], v[2:3]
	v_nop
	v_fma_f64 v[6:7], -v[2:3], v[4:5], 1.0
	s_delay_alu instid0(VALU_DEP_1) | instskip(NEXT) | instid1(VALU_DEP_1)
	v_fmac_f64_e32 v[4:5], v[4:5], v[6:7]
	v_fma_f64 v[6:7], -v[2:3], v[4:5], 1.0
	s_delay_alu instid0(VALU_DEP_1) | instskip(SKIP_1) | instid1(VALU_DEP_1)
	v_fmac_f64_e32 v[4:5], v[4:5], v[6:7]
	v_div_scale_f64 v[6:7], vcc_lo, v[0:1], s[2:3], v[0:1]
	v_mul_f64_e32 v[8:9], v[6:7], v[4:5]
	s_delay_alu instid0(VALU_DEP_1) | instskip(NEXT) | instid1(VALU_DEP_1)
	v_fma_f64 v[2:3], -v[2:3], v[8:9], v[6:7]
	v_div_fmas_f64 v[2:3], v[2:3], v[4:5], v[8:9]
	s_delay_alu instid0(VALU_DEP_1)
	v_div_fixup_f64 v[0:1], v[2:3], s[2:3], v[0:1]
.LBB85_31:
	v_mbcnt_lo_u32_b32 v2, exec_lo, 0
	s_delay_alu instid0(VALU_DEP_1)
	v_cmp_eq_u32_e32 vcc_lo, 0, v2
	s_and_b32 exec_lo, exec_lo, vcc_lo
	s_cbranch_execz .LBB85_33
; %bb.32:
	s_load_b64 s[0:1], s[0:1], 0x10
	v_mov_b32_e32 v2, 0
	s_wait_xcnt 0x0
	s_wait_dscnt 0x0
	s_wait_kmcnt 0x0
	global_atomic_max_num_f64 v2, v[0:1], s[0:1] scope:SCOPE_DEV
.LBB85_33:
	s_endpgm
	.section	.rodata,"a",@progbits
	.p2align	6, 0x0
	.amdhsa_kernel _ZN9rocsparseL13kernel_nrminfILj1024E21rocsparse_complex_numIdEEEvmPKT0_PNS_15floating_traitsIS3_E6data_tEPKS8_
		.amdhsa_group_segment_fixed_size 8192
		.amdhsa_private_segment_fixed_size 0
		.amdhsa_kernarg_size 32
		.amdhsa_user_sgpr_count 2
		.amdhsa_user_sgpr_dispatch_ptr 0
		.amdhsa_user_sgpr_queue_ptr 0
		.amdhsa_user_sgpr_kernarg_segment_ptr 1
		.amdhsa_user_sgpr_dispatch_id 0
		.amdhsa_user_sgpr_kernarg_preload_length 0
		.amdhsa_user_sgpr_kernarg_preload_offset 0
		.amdhsa_user_sgpr_private_segment_size 0
		.amdhsa_wavefront_size32 1
		.amdhsa_uses_dynamic_stack 0
		.amdhsa_enable_private_segment 0
		.amdhsa_system_sgpr_workgroup_id_x 1
		.amdhsa_system_sgpr_workgroup_id_y 0
		.amdhsa_system_sgpr_workgroup_id_z 0
		.amdhsa_system_sgpr_workgroup_info 0
		.amdhsa_system_vgpr_workitem_id 0
		.amdhsa_next_free_vgpr 14
		.amdhsa_next_free_sgpr 7
		.amdhsa_named_barrier_count 0
		.amdhsa_reserve_vcc 1
		.amdhsa_float_round_mode_32 0
		.amdhsa_float_round_mode_16_64 0
		.amdhsa_float_denorm_mode_32 3
		.amdhsa_float_denorm_mode_16_64 3
		.amdhsa_fp16_overflow 0
		.amdhsa_memory_ordered 1
		.amdhsa_forward_progress 1
		.amdhsa_inst_pref_size 13
		.amdhsa_round_robin_scheduling 0
		.amdhsa_exception_fp_ieee_invalid_op 0
		.amdhsa_exception_fp_denorm_src 0
		.amdhsa_exception_fp_ieee_div_zero 0
		.amdhsa_exception_fp_ieee_overflow 0
		.amdhsa_exception_fp_ieee_underflow 0
		.amdhsa_exception_fp_ieee_inexact 0
		.amdhsa_exception_int_div_zero 0
	.end_amdhsa_kernel
	.section	.text._ZN9rocsparseL13kernel_nrminfILj1024E21rocsparse_complex_numIdEEEvmPKT0_PNS_15floating_traitsIS3_E6data_tEPKS8_,"axG",@progbits,_ZN9rocsparseL13kernel_nrminfILj1024E21rocsparse_complex_numIdEEEvmPKT0_PNS_15floating_traitsIS3_E6data_tEPKS8_,comdat
.Lfunc_end85:
	.size	_ZN9rocsparseL13kernel_nrminfILj1024E21rocsparse_complex_numIdEEEvmPKT0_PNS_15floating_traitsIS3_E6data_tEPKS8_, .Lfunc_end85-_ZN9rocsparseL13kernel_nrminfILj1024E21rocsparse_complex_numIdEEEvmPKT0_PNS_15floating_traitsIS3_E6data_tEPKS8_
                                        ; -- End function
	.set _ZN9rocsparseL13kernel_nrminfILj1024E21rocsparse_complex_numIdEEEvmPKT0_PNS_15floating_traitsIS3_E6data_tEPKS8_.num_vgpr, 14
	.set _ZN9rocsparseL13kernel_nrminfILj1024E21rocsparse_complex_numIdEEEvmPKT0_PNS_15floating_traitsIS3_E6data_tEPKS8_.num_agpr, 0
	.set _ZN9rocsparseL13kernel_nrminfILj1024E21rocsparse_complex_numIdEEEvmPKT0_PNS_15floating_traitsIS3_E6data_tEPKS8_.numbered_sgpr, 7
	.set _ZN9rocsparseL13kernel_nrminfILj1024E21rocsparse_complex_numIdEEEvmPKT0_PNS_15floating_traitsIS3_E6data_tEPKS8_.num_named_barrier, 0
	.set _ZN9rocsparseL13kernel_nrminfILj1024E21rocsparse_complex_numIdEEEvmPKT0_PNS_15floating_traitsIS3_E6data_tEPKS8_.private_seg_size, 0
	.set _ZN9rocsparseL13kernel_nrminfILj1024E21rocsparse_complex_numIdEEEvmPKT0_PNS_15floating_traitsIS3_E6data_tEPKS8_.uses_vcc, 1
	.set _ZN9rocsparseL13kernel_nrminfILj1024E21rocsparse_complex_numIdEEEvmPKT0_PNS_15floating_traitsIS3_E6data_tEPKS8_.uses_flat_scratch, 0
	.set _ZN9rocsparseL13kernel_nrminfILj1024E21rocsparse_complex_numIdEEEvmPKT0_PNS_15floating_traitsIS3_E6data_tEPKS8_.has_dyn_sized_stack, 0
	.set _ZN9rocsparseL13kernel_nrminfILj1024E21rocsparse_complex_numIdEEEvmPKT0_PNS_15floating_traitsIS3_E6data_tEPKS8_.has_recursion, 0
	.set _ZN9rocsparseL13kernel_nrminfILj1024E21rocsparse_complex_numIdEEEvmPKT0_PNS_15floating_traitsIS3_E6data_tEPKS8_.has_indirect_call, 0
	.section	.AMDGPU.csdata,"",@progbits
; Kernel info:
; codeLenInByte = 1628
; TotalNumSgprs: 9
; NumVgprs: 14
; ScratchSize: 0
; MemoryBound: 1
; FloatMode: 240
; IeeeMode: 1
; LDSByteSize: 8192 bytes/workgroup (compile time only)
; SGPRBlocks: 0
; VGPRBlocks: 0
; NumSGPRsForWavesPerEU: 9
; NumVGPRsForWavesPerEU: 14
; NamedBarCnt: 0
; Occupancy: 16
; WaveLimiterHint : 0
; COMPUTE_PGM_RSRC2:SCRATCH_EN: 0
; COMPUTE_PGM_RSRC2:USER_SGPR: 2
; COMPUTE_PGM_RSRC2:TRAP_HANDLER: 0
; COMPUTE_PGM_RSRC2:TGID_X_EN: 1
; COMPUTE_PGM_RSRC2:TGID_Y_EN: 0
; COMPUTE_PGM_RSRC2:TGID_Z_EN: 0
; COMPUTE_PGM_RSRC2:TIDIG_COMP_CNT: 0
	.section	.text._ZN9rocsparseL18kernel_nrminf_diffILj512EfEEvmPKT0_S3_PNS_15floating_traitsIS1_E6data_tEPKS6_,"axG",@progbits,_ZN9rocsparseL18kernel_nrminf_diffILj512EfEEvmPKT0_S3_PNS_15floating_traitsIS1_E6data_tEPKS6_,comdat
	.globl	_ZN9rocsparseL18kernel_nrminf_diffILj512EfEEvmPKT0_S3_PNS_15floating_traitsIS1_E6data_tEPKS6_ ; -- Begin function _ZN9rocsparseL18kernel_nrminf_diffILj512EfEEvmPKT0_S3_PNS_15floating_traitsIS1_E6data_tEPKS6_
	.p2align	8
	.type	_ZN9rocsparseL18kernel_nrminf_diffILj512EfEEvmPKT0_S3_PNS_15floating_traitsIS1_E6data_tEPKS6_,@function
_ZN9rocsparseL18kernel_nrminf_diffILj512EfEEvmPKT0_S3_PNS_15floating_traitsIS1_E6data_tEPKS6_: ; @_ZN9rocsparseL18kernel_nrminf_diffILj512EfEEvmPKT0_S3_PNS_15floating_traitsIS1_E6data_tEPKS6_
; %bb.0:
	s_load_b64 s[2:3], s[0:1], 0x0
	s_bfe_u32 s4, ttmp6, 0x4000c
	s_and_b32 s5, ttmp6, 15
	s_add_co_i32 s4, s4, 1
	s_getreg_b32 s6, hwreg(HW_REG_IB_STS2, 6, 4)
	s_mul_i32 s4, ttmp9, s4
	v_mov_b32_e32 v3, 0
	s_add_co_i32 s5, s5, s4
	s_cmp_eq_u32 s6, 0
	s_cselect_b32 s4, ttmp9, s5
	s_delay_alu instid0(SALU_CYCLE_1) | instskip(SKIP_1) | instid1(VALU_DEP_1)
	v_lshl_or_b32 v2, s4, 9, v0
	s_wait_kmcnt 0x0
	v_cmp_gt_u64_e32 vcc_lo, s[2:3], v[2:3]
	s_and_saveexec_b32 s2, vcc_lo
	s_cbranch_execz .LBB86_2
; %bb.1:
	s_load_b128 s[4:7], s[0:1], 0x8
	v_lshlrev_b64_e32 v[2:3], 2, v[2:3]
	s_wait_kmcnt 0x0
	s_delay_alu instid0(VALU_DEP_1)
	v_add_nc_u64_e32 v[4:5], s[4:5], v[2:3]
	v_add_nc_u64_e32 v[2:3], s[6:7], v[2:3]
	global_load_b32 v1, v[4:5], off
	global_load_b32 v6, v[2:3], off
	s_wait_loadcnt 0x0
	v_sub_f32_e32 v1, v1, v6
	s_delay_alu instid0(VALU_DEP_1)
	v_and_b32_e32 v3, 0x7fffffff, v1
.LBB86_2:
	s_or_b32 exec_lo, exec_lo, s2
	v_lshlrev_b32_e32 v1, 2, v0
	s_mov_b32 s2, exec_lo
	ds_store_b32 v1, v3
	s_wait_dscnt 0x0
	s_barrier_signal -1
	s_barrier_wait -1
	v_cmpx_gt_u32_e32 0x100, v0
	s_cbranch_execz .LBB86_4
; %bb.3:
	ds_load_2addr_stride64_b32 v[2:3], v1 offset1:4
	s_wait_dscnt 0x0
	v_cmp_lt_f32_e32 vcc_lo, v2, v3
	v_cndmask_b32_e32 v2, v2, v3, vcc_lo
	ds_store_b32 v1, v2
.LBB86_4:
	s_or_b32 exec_lo, exec_lo, s2
	s_delay_alu instid0(SALU_CYCLE_1)
	s_mov_b32 s2, exec_lo
	s_wait_dscnt 0x0
	s_barrier_signal -1
	s_barrier_wait -1
	v_cmpx_gt_u32_e32 0x80, v0
	s_cbranch_execz .LBB86_6
; %bb.5:
	ds_load_2addr_stride64_b32 v[2:3], v1 offset1:2
	s_wait_dscnt 0x0
	v_cmp_lt_f32_e32 vcc_lo, v2, v3
	v_cndmask_b32_e32 v2, v2, v3, vcc_lo
	ds_store_b32 v1, v2
.LBB86_6:
	s_or_b32 exec_lo, exec_lo, s2
	s_delay_alu instid0(SALU_CYCLE_1)
	s_mov_b32 s2, exec_lo
	;; [unrolled: 15-line block ×3, first 2 shown]
	s_wait_dscnt 0x0
	s_barrier_signal -1
	s_barrier_wait -1
	v_cmpx_gt_u32_e32 32, v0
	s_cbranch_execz .LBB86_10
; %bb.9:
	ds_load_2addr_b32 v[2:3], v1 offset1:32
	s_wait_dscnt 0x0
	v_cmp_lt_f32_e32 vcc_lo, v2, v3
	v_cndmask_b32_e32 v2, v2, v3, vcc_lo
	ds_store_b32 v1, v2
.LBB86_10:
	s_or_b32 exec_lo, exec_lo, s2
	s_delay_alu instid0(SALU_CYCLE_1)
	s_mov_b32 s2, exec_lo
	s_wait_dscnt 0x0
	s_barrier_signal -1
	s_barrier_wait -1
	v_cmpx_gt_u32_e32 16, v0
	s_cbranch_execz .LBB86_12
; %bb.11:
	ds_load_2addr_b32 v[2:3], v1 offset1:16
	s_wait_dscnt 0x0
	v_cmp_lt_f32_e32 vcc_lo, v2, v3
	v_cndmask_b32_e32 v2, v2, v3, vcc_lo
	ds_store_b32 v1, v2
.LBB86_12:
	s_or_b32 exec_lo, exec_lo, s2
	s_delay_alu instid0(SALU_CYCLE_1)
	s_mov_b32 s2, exec_lo
	;; [unrolled: 15-line block ×4, first 2 shown]
	s_wait_dscnt 0x0
	s_barrier_signal -1
	s_barrier_wait -1
	v_cmpx_gt_u32_e32 2, v0
	s_cbranch_execz .LBB86_18
; %bb.17:
	ds_load_2addr_b32 v[2:3], v1 offset1:2
	s_wait_dscnt 0x0
	v_cmp_lt_f32_e32 vcc_lo, v2, v3
	v_cndmask_b32_e32 v2, v2, v3, vcc_lo
	ds_store_b32 v1, v2
.LBB86_18:
	s_or_b32 exec_lo, exec_lo, s2
	v_cmp_eq_u32_e32 vcc_lo, 0, v0
	s_wait_dscnt 0x0
	s_barrier_signal -1
	s_barrier_wait -1
	s_and_saveexec_b32 s3, vcc_lo
	s_cbranch_execz .LBB86_20
; %bb.19:
	v_mov_b32_e32 v2, 0
	ds_load_b64 v[0:1], v2
	s_wait_dscnt 0x0
	v_cmp_lt_f32_e64 s2, v0, v1
	s_delay_alu instid0(VALU_DEP_1)
	v_cndmask_b32_e64 v0, v0, v1, s2
	ds_store_b32 v2, v0
.LBB86_20:
	s_or_b32 exec_lo, exec_lo, s3
	s_wait_dscnt 0x0
	s_barrier_signal -1
	s_barrier_wait -1
	s_and_saveexec_b32 s2, vcc_lo
	s_cbranch_execz .LBB86_25
; %bb.21:
	v_mov_b32_e32 v0, 0
	s_load_b64 s[2:3], s[0:1], 0x20
	ds_load_b32 v0, v0
	s_wait_kmcnt 0x0
	s_cmp_eq_u64 s[2:3], 0
	s_cbranch_scc1 .LBB86_23
; %bb.22:
	s_load_b32 s2, s[2:3], 0x0
	s_wait_dscnt 0x0
	s_wait_kmcnt 0x0
	v_div_scale_f32 v1, null, s2, s2, v0
	s_delay_alu instid0(VALU_DEP_1)
	v_rcp_f32_e32 v2, v1
	v_nop
	v_xor_b32_e32 v1, 0x80000000, v1
	s_delay_alu instid0(TRANS32_DEP_1) | instid1(VALU_DEP_1)
	v_fma_f32 v3, v1, v2, 1.0
	s_delay_alu instid0(VALU_DEP_1) | instskip(SKIP_1) | instid1(VALU_DEP_1)
	v_fmac_f32_e32 v2, v3, v2
	v_div_scale_f32 v3, vcc_lo, v0, s2, v0
	v_mul_f32_e32 v4, v3, v2
	s_delay_alu instid0(VALU_DEP_1) | instskip(NEXT) | instid1(VALU_DEP_1)
	v_fma_f32 v5, v1, v4, v3
	v_fmac_f32_e32 v4, v5, v2
	s_delay_alu instid0(VALU_DEP_1) | instskip(NEXT) | instid1(VALU_DEP_1)
	v_fmac_f32_e32 v3, v1, v4
	v_div_fmas_f32 v1, v3, v2, v4
	s_delay_alu instid0(VALU_DEP_1)
	v_div_fixup_f32 v0, v1, s2, v0
.LBB86_23:
	v_mbcnt_lo_u32_b32 v1, exec_lo, 0
	s_delay_alu instid0(VALU_DEP_1)
	v_cmp_eq_u32_e32 vcc_lo, 0, v1
	s_and_b32 exec_lo, exec_lo, vcc_lo
	s_cbranch_execz .LBB86_25
; %bb.24:
	s_load_b64 s[0:1], s[0:1], 0x18
	v_mov_b32_e32 v1, 0
	s_wait_xcnt 0x0
	s_wait_dscnt 0x0
	s_wait_kmcnt 0x0
	global_atomic_max_num_f32 v1, v0, s[0:1] scope:SCOPE_DEV
.LBB86_25:
	s_endpgm
	.section	.rodata,"a",@progbits
	.p2align	6, 0x0
	.amdhsa_kernel _ZN9rocsparseL18kernel_nrminf_diffILj512EfEEvmPKT0_S3_PNS_15floating_traitsIS1_E6data_tEPKS6_
		.amdhsa_group_segment_fixed_size 2048
		.amdhsa_private_segment_fixed_size 0
		.amdhsa_kernarg_size 40
		.amdhsa_user_sgpr_count 2
		.amdhsa_user_sgpr_dispatch_ptr 0
		.amdhsa_user_sgpr_queue_ptr 0
		.amdhsa_user_sgpr_kernarg_segment_ptr 1
		.amdhsa_user_sgpr_dispatch_id 0
		.amdhsa_user_sgpr_kernarg_preload_length 0
		.amdhsa_user_sgpr_kernarg_preload_offset 0
		.amdhsa_user_sgpr_private_segment_size 0
		.amdhsa_wavefront_size32 1
		.amdhsa_uses_dynamic_stack 0
		.amdhsa_enable_private_segment 0
		.amdhsa_system_sgpr_workgroup_id_x 1
		.amdhsa_system_sgpr_workgroup_id_y 0
		.amdhsa_system_sgpr_workgroup_id_z 0
		.amdhsa_system_sgpr_workgroup_info 0
		.amdhsa_system_vgpr_workitem_id 0
		.amdhsa_next_free_vgpr 7
		.amdhsa_next_free_sgpr 8
		.amdhsa_named_barrier_count 0
		.amdhsa_reserve_vcc 1
		.amdhsa_float_round_mode_32 0
		.amdhsa_float_round_mode_16_64 0
		.amdhsa_float_denorm_mode_32 3
		.amdhsa_float_denorm_mode_16_64 3
		.amdhsa_fp16_overflow 0
		.amdhsa_memory_ordered 1
		.amdhsa_forward_progress 1
		.amdhsa_inst_pref_size 8
		.amdhsa_round_robin_scheduling 0
		.amdhsa_exception_fp_ieee_invalid_op 0
		.amdhsa_exception_fp_denorm_src 0
		.amdhsa_exception_fp_ieee_div_zero 0
		.amdhsa_exception_fp_ieee_overflow 0
		.amdhsa_exception_fp_ieee_underflow 0
		.amdhsa_exception_fp_ieee_inexact 0
		.amdhsa_exception_int_div_zero 0
	.end_amdhsa_kernel
	.section	.text._ZN9rocsparseL18kernel_nrminf_diffILj512EfEEvmPKT0_S3_PNS_15floating_traitsIS1_E6data_tEPKS6_,"axG",@progbits,_ZN9rocsparseL18kernel_nrminf_diffILj512EfEEvmPKT0_S3_PNS_15floating_traitsIS1_E6data_tEPKS6_,comdat
.Lfunc_end86:
	.size	_ZN9rocsparseL18kernel_nrminf_diffILj512EfEEvmPKT0_S3_PNS_15floating_traitsIS1_E6data_tEPKS6_, .Lfunc_end86-_ZN9rocsparseL18kernel_nrminf_diffILj512EfEEvmPKT0_S3_PNS_15floating_traitsIS1_E6data_tEPKS6_
                                        ; -- End function
	.set _ZN9rocsparseL18kernel_nrminf_diffILj512EfEEvmPKT0_S3_PNS_15floating_traitsIS1_E6data_tEPKS6_.num_vgpr, 7
	.set _ZN9rocsparseL18kernel_nrminf_diffILj512EfEEvmPKT0_S3_PNS_15floating_traitsIS1_E6data_tEPKS6_.num_agpr, 0
	.set _ZN9rocsparseL18kernel_nrminf_diffILj512EfEEvmPKT0_S3_PNS_15floating_traitsIS1_E6data_tEPKS6_.numbered_sgpr, 8
	.set _ZN9rocsparseL18kernel_nrminf_diffILj512EfEEvmPKT0_S3_PNS_15floating_traitsIS1_E6data_tEPKS6_.num_named_barrier, 0
	.set _ZN9rocsparseL18kernel_nrminf_diffILj512EfEEvmPKT0_S3_PNS_15floating_traitsIS1_E6data_tEPKS6_.private_seg_size, 0
	.set _ZN9rocsparseL18kernel_nrminf_diffILj512EfEEvmPKT0_S3_PNS_15floating_traitsIS1_E6data_tEPKS6_.uses_vcc, 1
	.set _ZN9rocsparseL18kernel_nrminf_diffILj512EfEEvmPKT0_S3_PNS_15floating_traitsIS1_E6data_tEPKS6_.uses_flat_scratch, 0
	.set _ZN9rocsparseL18kernel_nrminf_diffILj512EfEEvmPKT0_S3_PNS_15floating_traitsIS1_E6data_tEPKS6_.has_dyn_sized_stack, 0
	.set _ZN9rocsparseL18kernel_nrminf_diffILj512EfEEvmPKT0_S3_PNS_15floating_traitsIS1_E6data_tEPKS6_.has_recursion, 0
	.set _ZN9rocsparseL18kernel_nrminf_diffILj512EfEEvmPKT0_S3_PNS_15floating_traitsIS1_E6data_tEPKS6_.has_indirect_call, 0
	.section	.AMDGPU.csdata,"",@progbits
; Kernel info:
; codeLenInByte = 956
; TotalNumSgprs: 10
; NumVgprs: 7
; ScratchSize: 0
; MemoryBound: 0
; FloatMode: 240
; IeeeMode: 1
; LDSByteSize: 2048 bytes/workgroup (compile time only)
; SGPRBlocks: 0
; VGPRBlocks: 0
; NumSGPRsForWavesPerEU: 10
; NumVGPRsForWavesPerEU: 7
; NamedBarCnt: 0
; Occupancy: 16
; WaveLimiterHint : 0
; COMPUTE_PGM_RSRC2:SCRATCH_EN: 0
; COMPUTE_PGM_RSRC2:USER_SGPR: 2
; COMPUTE_PGM_RSRC2:TRAP_HANDLER: 0
; COMPUTE_PGM_RSRC2:TGID_X_EN: 1
; COMPUTE_PGM_RSRC2:TGID_Y_EN: 0
; COMPUTE_PGM_RSRC2:TGID_Z_EN: 0
; COMPUTE_PGM_RSRC2:TIDIG_COMP_CNT: 0
	.section	.text._ZN9rocsparseL13kernel_nrminfILj512EfEEvmPKT0_PNS_15floating_traitsIS1_E6data_tEPKS6_,"axG",@progbits,_ZN9rocsparseL13kernel_nrminfILj512EfEEvmPKT0_PNS_15floating_traitsIS1_E6data_tEPKS6_,comdat
	.globl	_ZN9rocsparseL13kernel_nrminfILj512EfEEvmPKT0_PNS_15floating_traitsIS1_E6data_tEPKS6_ ; -- Begin function _ZN9rocsparseL13kernel_nrminfILj512EfEEvmPKT0_PNS_15floating_traitsIS1_E6data_tEPKS6_
	.p2align	8
	.type	_ZN9rocsparseL13kernel_nrminfILj512EfEEvmPKT0_PNS_15floating_traitsIS1_E6data_tEPKS6_,@function
_ZN9rocsparseL13kernel_nrminfILj512EfEEvmPKT0_PNS_15floating_traitsIS1_E6data_tEPKS6_: ; @_ZN9rocsparseL13kernel_nrminfILj512EfEEvmPKT0_PNS_15floating_traitsIS1_E6data_tEPKS6_
; %bb.0:
	s_load_b64 s[2:3], s[0:1], 0x0
	s_bfe_u32 s4, ttmp6, 0x4000c
	s_and_b32 s5, ttmp6, 15
	s_add_co_i32 s4, s4, 1
	s_getreg_b32 s6, hwreg(HW_REG_IB_STS2, 6, 4)
	s_mul_i32 s4, ttmp9, s4
	v_mov_b32_e32 v3, 0
	s_add_co_i32 s5, s5, s4
	s_cmp_eq_u32 s6, 0
	s_cselect_b32 s4, ttmp9, s5
	s_delay_alu instid0(SALU_CYCLE_1) | instskip(SKIP_1) | instid1(VALU_DEP_1)
	v_lshl_or_b32 v2, s4, 9, v0
	s_wait_kmcnt 0x0
	v_cmp_gt_u64_e32 vcc_lo, s[2:3], v[2:3]
	s_and_saveexec_b32 s2, vcc_lo
	s_cbranch_execz .LBB87_2
; %bb.1:
	s_load_b64 s[4:5], s[0:1], 0x8
	s_wait_kmcnt 0x0
	v_lshl_add_u64 v[2:3], v[2:3], 2, s[4:5]
	global_load_b32 v1, v[2:3], off
	s_wait_loadcnt 0x0
	v_and_b32_e32 v3, 0x7fffffff, v1
.LBB87_2:
	s_or_b32 exec_lo, exec_lo, s2
	v_lshlrev_b32_e32 v1, 2, v0
	s_mov_b32 s2, exec_lo
	ds_store_b32 v1, v3
	s_wait_dscnt 0x0
	s_barrier_signal -1
	s_barrier_wait -1
	v_cmpx_gt_u32_e32 0x100, v0
	s_cbranch_execz .LBB87_4
; %bb.3:
	ds_load_2addr_stride64_b32 v[2:3], v1 offset1:4
	s_wait_dscnt 0x0
	v_cmp_lt_f32_e32 vcc_lo, v2, v3
	v_cndmask_b32_e32 v2, v2, v3, vcc_lo
	ds_store_b32 v1, v2
.LBB87_4:
	s_or_b32 exec_lo, exec_lo, s2
	s_delay_alu instid0(SALU_CYCLE_1)
	s_mov_b32 s2, exec_lo
	s_wait_dscnt 0x0
	s_barrier_signal -1
	s_barrier_wait -1
	v_cmpx_gt_u32_e32 0x80, v0
	s_cbranch_execz .LBB87_6
; %bb.5:
	ds_load_2addr_stride64_b32 v[2:3], v1 offset1:2
	s_wait_dscnt 0x0
	v_cmp_lt_f32_e32 vcc_lo, v2, v3
	v_cndmask_b32_e32 v2, v2, v3, vcc_lo
	ds_store_b32 v1, v2
.LBB87_6:
	s_or_b32 exec_lo, exec_lo, s2
	s_delay_alu instid0(SALU_CYCLE_1)
	s_mov_b32 s2, exec_lo
	;; [unrolled: 15-line block ×3, first 2 shown]
	s_wait_dscnt 0x0
	s_barrier_signal -1
	s_barrier_wait -1
	v_cmpx_gt_u32_e32 32, v0
	s_cbranch_execz .LBB87_10
; %bb.9:
	ds_load_2addr_b32 v[2:3], v1 offset1:32
	s_wait_dscnt 0x0
	v_cmp_lt_f32_e32 vcc_lo, v2, v3
	v_cndmask_b32_e32 v2, v2, v3, vcc_lo
	ds_store_b32 v1, v2
.LBB87_10:
	s_or_b32 exec_lo, exec_lo, s2
	s_delay_alu instid0(SALU_CYCLE_1)
	s_mov_b32 s2, exec_lo
	s_wait_dscnt 0x0
	s_barrier_signal -1
	s_barrier_wait -1
	v_cmpx_gt_u32_e32 16, v0
	s_cbranch_execz .LBB87_12
; %bb.11:
	ds_load_2addr_b32 v[2:3], v1 offset1:16
	s_wait_dscnt 0x0
	v_cmp_lt_f32_e32 vcc_lo, v2, v3
	v_cndmask_b32_e32 v2, v2, v3, vcc_lo
	ds_store_b32 v1, v2
.LBB87_12:
	s_or_b32 exec_lo, exec_lo, s2
	s_delay_alu instid0(SALU_CYCLE_1)
	s_mov_b32 s2, exec_lo
	;; [unrolled: 15-line block ×4, first 2 shown]
	s_wait_dscnt 0x0
	s_barrier_signal -1
	s_barrier_wait -1
	v_cmpx_gt_u32_e32 2, v0
	s_cbranch_execz .LBB87_18
; %bb.17:
	ds_load_2addr_b32 v[2:3], v1 offset1:2
	s_wait_dscnt 0x0
	v_cmp_lt_f32_e32 vcc_lo, v2, v3
	v_cndmask_b32_e32 v2, v2, v3, vcc_lo
	ds_store_b32 v1, v2
.LBB87_18:
	s_or_b32 exec_lo, exec_lo, s2
	v_cmp_eq_u32_e32 vcc_lo, 0, v0
	s_wait_dscnt 0x0
	s_barrier_signal -1
	s_barrier_wait -1
	s_and_saveexec_b32 s3, vcc_lo
	s_cbranch_execz .LBB87_20
; %bb.19:
	v_mov_b32_e32 v2, 0
	ds_load_b64 v[0:1], v2
	s_wait_dscnt 0x0
	v_cmp_lt_f32_e64 s2, v0, v1
	s_delay_alu instid0(VALU_DEP_1)
	v_cndmask_b32_e64 v0, v0, v1, s2
	ds_store_b32 v2, v0
.LBB87_20:
	s_or_b32 exec_lo, exec_lo, s3
	s_wait_dscnt 0x0
	s_barrier_signal -1
	s_barrier_wait -1
	s_and_saveexec_b32 s2, vcc_lo
	s_cbranch_execz .LBB87_25
; %bb.21:
	v_mov_b32_e32 v0, 0
	s_load_b64 s[2:3], s[0:1], 0x18
	ds_load_b32 v0, v0
	s_wait_kmcnt 0x0
	s_cmp_eq_u64 s[2:3], 0
	s_cbranch_scc1 .LBB87_23
; %bb.22:
	s_load_b32 s2, s[2:3], 0x0
	s_wait_dscnt 0x0
	s_wait_kmcnt 0x0
	v_div_scale_f32 v1, null, s2, s2, v0
	s_delay_alu instid0(VALU_DEP_1)
	v_rcp_f32_e32 v2, v1
	v_nop
	v_xor_b32_e32 v1, 0x80000000, v1
	s_delay_alu instid0(TRANS32_DEP_1) | instid1(VALU_DEP_1)
	v_fma_f32 v3, v1, v2, 1.0
	s_delay_alu instid0(VALU_DEP_1) | instskip(SKIP_1) | instid1(VALU_DEP_1)
	v_fmac_f32_e32 v2, v3, v2
	v_div_scale_f32 v3, vcc_lo, v0, s2, v0
	v_mul_f32_e32 v4, v3, v2
	s_delay_alu instid0(VALU_DEP_1) | instskip(NEXT) | instid1(VALU_DEP_1)
	v_fma_f32 v5, v1, v4, v3
	v_fmac_f32_e32 v4, v5, v2
	s_delay_alu instid0(VALU_DEP_1) | instskip(NEXT) | instid1(VALU_DEP_1)
	v_fmac_f32_e32 v3, v1, v4
	v_div_fmas_f32 v1, v3, v2, v4
	s_delay_alu instid0(VALU_DEP_1)
	v_div_fixup_f32 v0, v1, s2, v0
.LBB87_23:
	v_mbcnt_lo_u32_b32 v1, exec_lo, 0
	s_delay_alu instid0(VALU_DEP_1)
	v_cmp_eq_u32_e32 vcc_lo, 0, v1
	s_and_b32 exec_lo, exec_lo, vcc_lo
	s_cbranch_execz .LBB87_25
; %bb.24:
	s_load_b64 s[0:1], s[0:1], 0x10
	v_mov_b32_e32 v1, 0
	s_wait_xcnt 0x0
	s_wait_dscnt 0x0
	s_wait_kmcnt 0x0
	global_atomic_max_num_f32 v1, v0, s[0:1] scope:SCOPE_DEV
.LBB87_25:
	s_endpgm
	.section	.rodata,"a",@progbits
	.p2align	6, 0x0
	.amdhsa_kernel _ZN9rocsparseL13kernel_nrminfILj512EfEEvmPKT0_PNS_15floating_traitsIS1_E6data_tEPKS6_
		.amdhsa_group_segment_fixed_size 2048
		.amdhsa_private_segment_fixed_size 0
		.amdhsa_kernarg_size 32
		.amdhsa_user_sgpr_count 2
		.amdhsa_user_sgpr_dispatch_ptr 0
		.amdhsa_user_sgpr_queue_ptr 0
		.amdhsa_user_sgpr_kernarg_segment_ptr 1
		.amdhsa_user_sgpr_dispatch_id 0
		.amdhsa_user_sgpr_kernarg_preload_length 0
		.amdhsa_user_sgpr_kernarg_preload_offset 0
		.amdhsa_user_sgpr_private_segment_size 0
		.amdhsa_wavefront_size32 1
		.amdhsa_uses_dynamic_stack 0
		.amdhsa_enable_private_segment 0
		.amdhsa_system_sgpr_workgroup_id_x 1
		.amdhsa_system_sgpr_workgroup_id_y 0
		.amdhsa_system_sgpr_workgroup_id_z 0
		.amdhsa_system_sgpr_workgroup_info 0
		.amdhsa_system_vgpr_workitem_id 0
		.amdhsa_next_free_vgpr 6
		.amdhsa_next_free_sgpr 7
		.amdhsa_named_barrier_count 0
		.amdhsa_reserve_vcc 1
		.amdhsa_float_round_mode_32 0
		.amdhsa_float_round_mode_16_64 0
		.amdhsa_float_denorm_mode_32 3
		.amdhsa_float_denorm_mode_16_64 3
		.amdhsa_fp16_overflow 0
		.amdhsa_memory_ordered 1
		.amdhsa_forward_progress 1
		.amdhsa_inst_pref_size 8
		.amdhsa_round_robin_scheduling 0
		.amdhsa_exception_fp_ieee_invalid_op 0
		.amdhsa_exception_fp_denorm_src 0
		.amdhsa_exception_fp_ieee_div_zero 0
		.amdhsa_exception_fp_ieee_overflow 0
		.amdhsa_exception_fp_ieee_underflow 0
		.amdhsa_exception_fp_ieee_inexact 0
		.amdhsa_exception_int_div_zero 0
	.end_amdhsa_kernel
	.section	.text._ZN9rocsparseL13kernel_nrminfILj512EfEEvmPKT0_PNS_15floating_traitsIS1_E6data_tEPKS6_,"axG",@progbits,_ZN9rocsparseL13kernel_nrminfILj512EfEEvmPKT0_PNS_15floating_traitsIS1_E6data_tEPKS6_,comdat
.Lfunc_end87:
	.size	_ZN9rocsparseL13kernel_nrminfILj512EfEEvmPKT0_PNS_15floating_traitsIS1_E6data_tEPKS6_, .Lfunc_end87-_ZN9rocsparseL13kernel_nrminfILj512EfEEvmPKT0_PNS_15floating_traitsIS1_E6data_tEPKS6_
                                        ; -- End function
	.set _ZN9rocsparseL13kernel_nrminfILj512EfEEvmPKT0_PNS_15floating_traitsIS1_E6data_tEPKS6_.num_vgpr, 6
	.set _ZN9rocsparseL13kernel_nrminfILj512EfEEvmPKT0_PNS_15floating_traitsIS1_E6data_tEPKS6_.num_agpr, 0
	.set _ZN9rocsparseL13kernel_nrminfILj512EfEEvmPKT0_PNS_15floating_traitsIS1_E6data_tEPKS6_.numbered_sgpr, 7
	.set _ZN9rocsparseL13kernel_nrminfILj512EfEEvmPKT0_PNS_15floating_traitsIS1_E6data_tEPKS6_.num_named_barrier, 0
	.set _ZN9rocsparseL13kernel_nrminfILj512EfEEvmPKT0_PNS_15floating_traitsIS1_E6data_tEPKS6_.private_seg_size, 0
	.set _ZN9rocsparseL13kernel_nrminfILj512EfEEvmPKT0_PNS_15floating_traitsIS1_E6data_tEPKS6_.uses_vcc, 1
	.set _ZN9rocsparseL13kernel_nrminfILj512EfEEvmPKT0_PNS_15floating_traitsIS1_E6data_tEPKS6_.uses_flat_scratch, 0
	.set _ZN9rocsparseL13kernel_nrminfILj512EfEEvmPKT0_PNS_15floating_traitsIS1_E6data_tEPKS6_.has_dyn_sized_stack, 0
	.set _ZN9rocsparseL13kernel_nrminfILj512EfEEvmPKT0_PNS_15floating_traitsIS1_E6data_tEPKS6_.has_recursion, 0
	.set _ZN9rocsparseL13kernel_nrminfILj512EfEEvmPKT0_PNS_15floating_traitsIS1_E6data_tEPKS6_.has_indirect_call, 0
	.section	.AMDGPU.csdata,"",@progbits
; Kernel info:
; codeLenInByte = 928
; TotalNumSgprs: 9
; NumVgprs: 6
; ScratchSize: 0
; MemoryBound: 0
; FloatMode: 240
; IeeeMode: 1
; LDSByteSize: 2048 bytes/workgroup (compile time only)
; SGPRBlocks: 0
; VGPRBlocks: 0
; NumSGPRsForWavesPerEU: 9
; NumVGPRsForWavesPerEU: 6
; NamedBarCnt: 0
; Occupancy: 16
; WaveLimiterHint : 0
; COMPUTE_PGM_RSRC2:SCRATCH_EN: 0
; COMPUTE_PGM_RSRC2:USER_SGPR: 2
; COMPUTE_PGM_RSRC2:TRAP_HANDLER: 0
; COMPUTE_PGM_RSRC2:TGID_X_EN: 1
; COMPUTE_PGM_RSRC2:TGID_Y_EN: 0
; COMPUTE_PGM_RSRC2:TGID_Z_EN: 0
; COMPUTE_PGM_RSRC2:TIDIG_COMP_CNT: 0
	.section	.text._ZN9rocsparseL18kernel_nrminf_diffILj512EdEEvmPKT0_S3_PNS_15floating_traitsIS1_E6data_tEPKS6_,"axG",@progbits,_ZN9rocsparseL18kernel_nrminf_diffILj512EdEEvmPKT0_S3_PNS_15floating_traitsIS1_E6data_tEPKS6_,comdat
	.globl	_ZN9rocsparseL18kernel_nrminf_diffILj512EdEEvmPKT0_S3_PNS_15floating_traitsIS1_E6data_tEPKS6_ ; -- Begin function _ZN9rocsparseL18kernel_nrminf_diffILj512EdEEvmPKT0_S3_PNS_15floating_traitsIS1_E6data_tEPKS6_
	.p2align	8
	.type	_ZN9rocsparseL18kernel_nrminf_diffILj512EdEEvmPKT0_S3_PNS_15floating_traitsIS1_E6data_tEPKS6_,@function
_ZN9rocsparseL18kernel_nrminf_diffILj512EdEEvmPKT0_S3_PNS_15floating_traitsIS1_E6data_tEPKS6_: ; @_ZN9rocsparseL18kernel_nrminf_diffILj512EdEEvmPKT0_S3_PNS_15floating_traitsIS1_E6data_tEPKS6_
; %bb.0:
	s_load_b64 s[2:3], s[0:1], 0x0
	s_bfe_u32 s4, ttmp6, 0x4000c
	s_and_b32 s5, ttmp6, 15
	s_add_co_i32 s4, s4, 1
	s_getreg_b32 s6, hwreg(HW_REG_IB_STS2, 6, 4)
	s_mul_i32 s4, ttmp9, s4
	v_mov_b32_e32 v5, 0
	s_add_co_i32 s5, s5, s4
	s_cmp_eq_u32 s6, 0
	v_mov_b64_e32 v[2:3], 0
	s_cselect_b32 s4, ttmp9, s5
	s_delay_alu instid0(SALU_CYCLE_1) | instskip(SKIP_1) | instid1(VALU_DEP_1)
	v_lshl_or_b32 v4, s4, 9, v0
	s_wait_kmcnt 0x0
	v_cmp_gt_u64_e32 vcc_lo, s[2:3], v[4:5]
	s_and_saveexec_b32 s2, vcc_lo
	s_cbranch_execz .LBB88_2
; %bb.1:
	s_load_b128 s[4:7], s[0:1], 0x8
	v_lshlrev_b64_e32 v[2:3], 3, v[4:5]
	s_wait_kmcnt 0x0
	s_delay_alu instid0(VALU_DEP_1)
	v_add_nc_u64_e32 v[4:5], s[4:5], v[2:3]
	v_add_nc_u64_e32 v[2:3], s[6:7], v[2:3]
	global_load_b64 v[6:7], v[4:5], off
	global_load_b64 v[8:9], v[2:3], off
	s_wait_loadcnt 0x0
	v_add_f64_e64 v[2:3], v[6:7], -v[8:9]
	s_delay_alu instid0(VALU_DEP_1)
	v_and_b32_e32 v3, 0x7fffffff, v3
.LBB88_2:
	s_or_b32 exec_lo, exec_lo, s2
	v_lshlrev_b32_e32 v1, 3, v0
	s_mov_b32 s2, exec_lo
	ds_store_b64 v1, v[2:3]
	s_wait_dscnt 0x0
	s_barrier_signal -1
	s_barrier_wait -1
	v_cmpx_gt_u32_e32 0x100, v0
	s_cbranch_execz .LBB88_4
; %bb.3:
	ds_load_2addr_stride64_b64 v[2:5], v1 offset1:4
	s_wait_dscnt 0x0
	v_cmp_lt_f64_e32 vcc_lo, v[2:3], v[4:5]
	v_dual_cndmask_b32 v3, v3, v5 :: v_dual_cndmask_b32 v2, v2, v4
	ds_store_b64 v1, v[2:3]
.LBB88_4:
	s_or_b32 exec_lo, exec_lo, s2
	s_delay_alu instid0(SALU_CYCLE_1)
	s_mov_b32 s2, exec_lo
	s_wait_dscnt 0x0
	s_barrier_signal -1
	s_barrier_wait -1
	v_cmpx_gt_u32_e32 0x80, v0
	s_cbranch_execz .LBB88_6
; %bb.5:
	ds_load_2addr_stride64_b64 v[2:5], v1 offset1:2
	s_wait_dscnt 0x0
	v_cmp_lt_f64_e32 vcc_lo, v[2:3], v[4:5]
	v_dual_cndmask_b32 v3, v3, v5 :: v_dual_cndmask_b32 v2, v2, v4
	ds_store_b64 v1, v[2:3]
.LBB88_6:
	s_or_b32 exec_lo, exec_lo, s2
	s_delay_alu instid0(SALU_CYCLE_1)
	s_mov_b32 s2, exec_lo
	;; [unrolled: 15-line block ×3, first 2 shown]
	s_wait_dscnt 0x0
	s_barrier_signal -1
	s_barrier_wait -1
	v_cmpx_gt_u32_e32 32, v0
	s_cbranch_execz .LBB88_10
; %bb.9:
	ds_load_2addr_b64 v[2:5], v1 offset1:32
	s_wait_dscnt 0x0
	v_cmp_lt_f64_e32 vcc_lo, v[2:3], v[4:5]
	v_dual_cndmask_b32 v3, v3, v5 :: v_dual_cndmask_b32 v2, v2, v4
	ds_store_b64 v1, v[2:3]
.LBB88_10:
	s_or_b32 exec_lo, exec_lo, s2
	s_delay_alu instid0(SALU_CYCLE_1)
	s_mov_b32 s2, exec_lo
	s_wait_dscnt 0x0
	s_barrier_signal -1
	s_barrier_wait -1
	v_cmpx_gt_u32_e32 16, v0
	s_cbranch_execz .LBB88_12
; %bb.11:
	ds_load_2addr_b64 v[2:5], v1 offset1:16
	s_wait_dscnt 0x0
	v_cmp_lt_f64_e32 vcc_lo, v[2:3], v[4:5]
	v_dual_cndmask_b32 v3, v3, v5 :: v_dual_cndmask_b32 v2, v2, v4
	ds_store_b64 v1, v[2:3]
.LBB88_12:
	s_or_b32 exec_lo, exec_lo, s2
	s_delay_alu instid0(SALU_CYCLE_1)
	s_mov_b32 s2, exec_lo
	;; [unrolled: 15-line block ×4, first 2 shown]
	s_wait_dscnt 0x0
	s_barrier_signal -1
	s_barrier_wait -1
	v_cmpx_gt_u32_e32 2, v0
	s_cbranch_execz .LBB88_18
; %bb.17:
	ds_load_2addr_b64 v[2:5], v1 offset1:2
	s_wait_dscnt 0x0
	v_cmp_lt_f64_e32 vcc_lo, v[2:3], v[4:5]
	v_dual_cndmask_b32 v3, v3, v5 :: v_dual_cndmask_b32 v2, v2, v4
	ds_store_b64 v1, v[2:3]
.LBB88_18:
	s_or_b32 exec_lo, exec_lo, s2
	v_cmp_eq_u32_e32 vcc_lo, 0, v0
	s_wait_dscnt 0x0
	s_barrier_signal -1
	s_barrier_wait -1
	s_and_saveexec_b32 s3, vcc_lo
	s_cbranch_execz .LBB88_20
; %bb.19:
	v_mov_b32_e32 v4, 0
	ds_load_b128 v[0:3], v4
	s_wait_dscnt 0x0
	v_cmp_lt_f64_e64 s2, v[0:1], v[2:3]
	s_delay_alu instid0(VALU_DEP_1)
	v_dual_cndmask_b32 v1, v1, v3, s2 :: v_dual_cndmask_b32 v0, v0, v2, s2
	ds_store_b64 v4, v[0:1]
.LBB88_20:
	s_or_b32 exec_lo, exec_lo, s3
	s_wait_dscnt 0x0
	s_barrier_signal -1
	s_barrier_wait -1
	s_and_saveexec_b32 s2, vcc_lo
	s_cbranch_execz .LBB88_25
; %bb.21:
	v_mov_b32_e32 v0, 0
	s_load_b64 s[2:3], s[0:1], 0x20
	ds_load_b64 v[0:1], v0
	s_wait_kmcnt 0x0
	s_cmp_eq_u64 s[2:3], 0
	s_cbranch_scc1 .LBB88_23
; %bb.22:
	s_load_b64 s[2:3], s[2:3], 0x0
	s_wait_dscnt 0x0
	s_wait_kmcnt 0x0
	v_div_scale_f64 v[2:3], null, s[2:3], s[2:3], v[0:1]
	s_delay_alu instid0(VALU_DEP_1) | instskip(SKIP_1) | instid1(TRANS32_DEP_1)
	v_rcp_f64_e32 v[4:5], v[2:3]
	v_nop
	v_fma_f64 v[6:7], -v[2:3], v[4:5], 1.0
	s_delay_alu instid0(VALU_DEP_1) | instskip(NEXT) | instid1(VALU_DEP_1)
	v_fmac_f64_e32 v[4:5], v[4:5], v[6:7]
	v_fma_f64 v[6:7], -v[2:3], v[4:5], 1.0
	s_delay_alu instid0(VALU_DEP_1) | instskip(SKIP_1) | instid1(VALU_DEP_1)
	v_fmac_f64_e32 v[4:5], v[4:5], v[6:7]
	v_div_scale_f64 v[6:7], vcc_lo, v[0:1], s[2:3], v[0:1]
	v_mul_f64_e32 v[8:9], v[6:7], v[4:5]
	s_delay_alu instid0(VALU_DEP_1) | instskip(NEXT) | instid1(VALU_DEP_1)
	v_fma_f64 v[2:3], -v[2:3], v[8:9], v[6:7]
	v_div_fmas_f64 v[2:3], v[2:3], v[4:5], v[8:9]
	s_delay_alu instid0(VALU_DEP_1)
	v_div_fixup_f64 v[0:1], v[2:3], s[2:3], v[0:1]
.LBB88_23:
	v_mbcnt_lo_u32_b32 v2, exec_lo, 0
	s_delay_alu instid0(VALU_DEP_1)
	v_cmp_eq_u32_e32 vcc_lo, 0, v2
	s_and_b32 exec_lo, exec_lo, vcc_lo
	s_cbranch_execz .LBB88_25
; %bb.24:
	s_load_b64 s[0:1], s[0:1], 0x18
	v_mov_b32_e32 v2, 0
	s_wait_xcnt 0x0
	s_wait_dscnt 0x0
	s_wait_kmcnt 0x0
	global_atomic_max_num_f64 v2, v[0:1], s[0:1] scope:SCOPE_DEV
.LBB88_25:
	s_endpgm
	.section	.rodata,"a",@progbits
	.p2align	6, 0x0
	.amdhsa_kernel _ZN9rocsparseL18kernel_nrminf_diffILj512EdEEvmPKT0_S3_PNS_15floating_traitsIS1_E6data_tEPKS6_
		.amdhsa_group_segment_fixed_size 4096
		.amdhsa_private_segment_fixed_size 0
		.amdhsa_kernarg_size 40
		.amdhsa_user_sgpr_count 2
		.amdhsa_user_sgpr_dispatch_ptr 0
		.amdhsa_user_sgpr_queue_ptr 0
		.amdhsa_user_sgpr_kernarg_segment_ptr 1
		.amdhsa_user_sgpr_dispatch_id 0
		.amdhsa_user_sgpr_kernarg_preload_length 0
		.amdhsa_user_sgpr_kernarg_preload_offset 0
		.amdhsa_user_sgpr_private_segment_size 0
		.amdhsa_wavefront_size32 1
		.amdhsa_uses_dynamic_stack 0
		.amdhsa_enable_private_segment 0
		.amdhsa_system_sgpr_workgroup_id_x 1
		.amdhsa_system_sgpr_workgroup_id_y 0
		.amdhsa_system_sgpr_workgroup_id_z 0
		.amdhsa_system_sgpr_workgroup_info 0
		.amdhsa_system_vgpr_workitem_id 0
		.amdhsa_next_free_vgpr 10
		.amdhsa_next_free_sgpr 8
		.amdhsa_named_barrier_count 0
		.amdhsa_reserve_vcc 1
		.amdhsa_float_round_mode_32 0
		.amdhsa_float_round_mode_16_64 0
		.amdhsa_float_denorm_mode_32 3
		.amdhsa_float_denorm_mode_16_64 3
		.amdhsa_fp16_overflow 0
		.amdhsa_memory_ordered 1
		.amdhsa_forward_progress 1
		.amdhsa_inst_pref_size 8
		.amdhsa_round_robin_scheduling 0
		.amdhsa_exception_fp_ieee_invalid_op 0
		.amdhsa_exception_fp_denorm_src 0
		.amdhsa_exception_fp_ieee_div_zero 0
		.amdhsa_exception_fp_ieee_overflow 0
		.amdhsa_exception_fp_ieee_underflow 0
		.amdhsa_exception_fp_ieee_inexact 0
		.amdhsa_exception_int_div_zero 0
	.end_amdhsa_kernel
	.section	.text._ZN9rocsparseL18kernel_nrminf_diffILj512EdEEvmPKT0_S3_PNS_15floating_traitsIS1_E6data_tEPKS6_,"axG",@progbits,_ZN9rocsparseL18kernel_nrminf_diffILj512EdEEvmPKT0_S3_PNS_15floating_traitsIS1_E6data_tEPKS6_,comdat
.Lfunc_end88:
	.size	_ZN9rocsparseL18kernel_nrminf_diffILj512EdEEvmPKT0_S3_PNS_15floating_traitsIS1_E6data_tEPKS6_, .Lfunc_end88-_ZN9rocsparseL18kernel_nrminf_diffILj512EdEEvmPKT0_S3_PNS_15floating_traitsIS1_E6data_tEPKS6_
                                        ; -- End function
	.set _ZN9rocsparseL18kernel_nrminf_diffILj512EdEEvmPKT0_S3_PNS_15floating_traitsIS1_E6data_tEPKS6_.num_vgpr, 10
	.set _ZN9rocsparseL18kernel_nrminf_diffILj512EdEEvmPKT0_S3_PNS_15floating_traitsIS1_E6data_tEPKS6_.num_agpr, 0
	.set _ZN9rocsparseL18kernel_nrminf_diffILj512EdEEvmPKT0_S3_PNS_15floating_traitsIS1_E6data_tEPKS6_.numbered_sgpr, 8
	.set _ZN9rocsparseL18kernel_nrminf_diffILj512EdEEvmPKT0_S3_PNS_15floating_traitsIS1_E6data_tEPKS6_.num_named_barrier, 0
	.set _ZN9rocsparseL18kernel_nrminf_diffILj512EdEEvmPKT0_S3_PNS_15floating_traitsIS1_E6data_tEPKS6_.private_seg_size, 0
	.set _ZN9rocsparseL18kernel_nrminf_diffILj512EdEEvmPKT0_S3_PNS_15floating_traitsIS1_E6data_tEPKS6_.uses_vcc, 1
	.set _ZN9rocsparseL18kernel_nrminf_diffILj512EdEEvmPKT0_S3_PNS_15floating_traitsIS1_E6data_tEPKS6_.uses_flat_scratch, 0
	.set _ZN9rocsparseL18kernel_nrminf_diffILj512EdEEvmPKT0_S3_PNS_15floating_traitsIS1_E6data_tEPKS6_.has_dyn_sized_stack, 0
	.set _ZN9rocsparseL18kernel_nrminf_diffILj512EdEEvmPKT0_S3_PNS_15floating_traitsIS1_E6data_tEPKS6_.has_recursion, 0
	.set _ZN9rocsparseL18kernel_nrminf_diffILj512EdEEvmPKT0_S3_PNS_15floating_traitsIS1_E6data_tEPKS6_.has_indirect_call, 0
	.section	.AMDGPU.csdata,"",@progbits
; Kernel info:
; codeLenInByte = 992
; TotalNumSgprs: 10
; NumVgprs: 10
; ScratchSize: 0
; MemoryBound: 1
; FloatMode: 240
; IeeeMode: 1
; LDSByteSize: 4096 bytes/workgroup (compile time only)
; SGPRBlocks: 0
; VGPRBlocks: 0
; NumSGPRsForWavesPerEU: 10
; NumVGPRsForWavesPerEU: 10
; NamedBarCnt: 0
; Occupancy: 16
; WaveLimiterHint : 0
; COMPUTE_PGM_RSRC2:SCRATCH_EN: 0
; COMPUTE_PGM_RSRC2:USER_SGPR: 2
; COMPUTE_PGM_RSRC2:TRAP_HANDLER: 0
; COMPUTE_PGM_RSRC2:TGID_X_EN: 1
; COMPUTE_PGM_RSRC2:TGID_Y_EN: 0
; COMPUTE_PGM_RSRC2:TGID_Z_EN: 0
; COMPUTE_PGM_RSRC2:TIDIG_COMP_CNT: 0
	.section	.text._ZN9rocsparseL13kernel_nrminfILj512EdEEvmPKT0_PNS_15floating_traitsIS1_E6data_tEPKS6_,"axG",@progbits,_ZN9rocsparseL13kernel_nrminfILj512EdEEvmPKT0_PNS_15floating_traitsIS1_E6data_tEPKS6_,comdat
	.globl	_ZN9rocsparseL13kernel_nrminfILj512EdEEvmPKT0_PNS_15floating_traitsIS1_E6data_tEPKS6_ ; -- Begin function _ZN9rocsparseL13kernel_nrminfILj512EdEEvmPKT0_PNS_15floating_traitsIS1_E6data_tEPKS6_
	.p2align	8
	.type	_ZN9rocsparseL13kernel_nrminfILj512EdEEvmPKT0_PNS_15floating_traitsIS1_E6data_tEPKS6_,@function
_ZN9rocsparseL13kernel_nrminfILj512EdEEvmPKT0_PNS_15floating_traitsIS1_E6data_tEPKS6_: ; @_ZN9rocsparseL13kernel_nrminfILj512EdEEvmPKT0_PNS_15floating_traitsIS1_E6data_tEPKS6_
; %bb.0:
	s_load_b64 s[2:3], s[0:1], 0x0
	s_bfe_u32 s4, ttmp6, 0x4000c
	s_and_b32 s5, ttmp6, 15
	s_add_co_i32 s4, s4, 1
	s_getreg_b32 s6, hwreg(HW_REG_IB_STS2, 6, 4)
	s_mul_i32 s4, ttmp9, s4
	v_mov_b32_e32 v5, 0
	s_add_co_i32 s5, s5, s4
	s_cmp_eq_u32 s6, 0
	v_mov_b64_e32 v[2:3], 0
	s_cselect_b32 s4, ttmp9, s5
	s_delay_alu instid0(SALU_CYCLE_1) | instskip(SKIP_1) | instid1(VALU_DEP_1)
	v_lshl_or_b32 v4, s4, 9, v0
	s_wait_kmcnt 0x0
	v_cmp_gt_u64_e32 vcc_lo, s[2:3], v[4:5]
	s_and_saveexec_b32 s2, vcc_lo
	s_cbranch_execz .LBB89_2
; %bb.1:
	s_load_b64 s[4:5], s[0:1], 0x8
	s_wait_kmcnt 0x0
	v_lshl_add_u64 v[2:3], v[4:5], 3, s[4:5]
	global_load_b64 v[2:3], v[2:3], off
	s_wait_loadcnt 0x0
	v_and_b32_e32 v3, 0x7fffffff, v3
.LBB89_2:
	s_or_b32 exec_lo, exec_lo, s2
	v_lshlrev_b32_e32 v1, 3, v0
	s_mov_b32 s2, exec_lo
	ds_store_b64 v1, v[2:3]
	s_wait_dscnt 0x0
	s_barrier_signal -1
	s_barrier_wait -1
	v_cmpx_gt_u32_e32 0x100, v0
	s_cbranch_execz .LBB89_4
; %bb.3:
	ds_load_2addr_stride64_b64 v[2:5], v1 offset1:4
	s_wait_dscnt 0x0
	v_cmp_lt_f64_e32 vcc_lo, v[2:3], v[4:5]
	v_dual_cndmask_b32 v3, v3, v5 :: v_dual_cndmask_b32 v2, v2, v4
	ds_store_b64 v1, v[2:3]
.LBB89_4:
	s_or_b32 exec_lo, exec_lo, s2
	s_delay_alu instid0(SALU_CYCLE_1)
	s_mov_b32 s2, exec_lo
	s_wait_dscnt 0x0
	s_barrier_signal -1
	s_barrier_wait -1
	v_cmpx_gt_u32_e32 0x80, v0
	s_cbranch_execz .LBB89_6
; %bb.5:
	ds_load_2addr_stride64_b64 v[2:5], v1 offset1:2
	s_wait_dscnt 0x0
	v_cmp_lt_f64_e32 vcc_lo, v[2:3], v[4:5]
	v_dual_cndmask_b32 v3, v3, v5 :: v_dual_cndmask_b32 v2, v2, v4
	ds_store_b64 v1, v[2:3]
.LBB89_6:
	s_or_b32 exec_lo, exec_lo, s2
	s_delay_alu instid0(SALU_CYCLE_1)
	s_mov_b32 s2, exec_lo
	;; [unrolled: 15-line block ×3, first 2 shown]
	s_wait_dscnt 0x0
	s_barrier_signal -1
	s_barrier_wait -1
	v_cmpx_gt_u32_e32 32, v0
	s_cbranch_execz .LBB89_10
; %bb.9:
	ds_load_2addr_b64 v[2:5], v1 offset1:32
	s_wait_dscnt 0x0
	v_cmp_lt_f64_e32 vcc_lo, v[2:3], v[4:5]
	v_dual_cndmask_b32 v3, v3, v5 :: v_dual_cndmask_b32 v2, v2, v4
	ds_store_b64 v1, v[2:3]
.LBB89_10:
	s_or_b32 exec_lo, exec_lo, s2
	s_delay_alu instid0(SALU_CYCLE_1)
	s_mov_b32 s2, exec_lo
	s_wait_dscnt 0x0
	s_barrier_signal -1
	s_barrier_wait -1
	v_cmpx_gt_u32_e32 16, v0
	s_cbranch_execz .LBB89_12
; %bb.11:
	ds_load_2addr_b64 v[2:5], v1 offset1:16
	s_wait_dscnt 0x0
	v_cmp_lt_f64_e32 vcc_lo, v[2:3], v[4:5]
	v_dual_cndmask_b32 v3, v3, v5 :: v_dual_cndmask_b32 v2, v2, v4
	ds_store_b64 v1, v[2:3]
.LBB89_12:
	s_or_b32 exec_lo, exec_lo, s2
	s_delay_alu instid0(SALU_CYCLE_1)
	s_mov_b32 s2, exec_lo
	;; [unrolled: 15-line block ×4, first 2 shown]
	s_wait_dscnt 0x0
	s_barrier_signal -1
	s_barrier_wait -1
	v_cmpx_gt_u32_e32 2, v0
	s_cbranch_execz .LBB89_18
; %bb.17:
	ds_load_2addr_b64 v[2:5], v1 offset1:2
	s_wait_dscnt 0x0
	v_cmp_lt_f64_e32 vcc_lo, v[2:3], v[4:5]
	v_dual_cndmask_b32 v3, v3, v5 :: v_dual_cndmask_b32 v2, v2, v4
	ds_store_b64 v1, v[2:3]
.LBB89_18:
	s_or_b32 exec_lo, exec_lo, s2
	v_cmp_eq_u32_e32 vcc_lo, 0, v0
	s_wait_dscnt 0x0
	s_barrier_signal -1
	s_barrier_wait -1
	s_and_saveexec_b32 s3, vcc_lo
	s_cbranch_execz .LBB89_20
; %bb.19:
	v_mov_b32_e32 v4, 0
	ds_load_b128 v[0:3], v4
	s_wait_dscnt 0x0
	v_cmp_lt_f64_e64 s2, v[0:1], v[2:3]
	s_delay_alu instid0(VALU_DEP_1)
	v_dual_cndmask_b32 v1, v1, v3, s2 :: v_dual_cndmask_b32 v0, v0, v2, s2
	ds_store_b64 v4, v[0:1]
.LBB89_20:
	s_or_b32 exec_lo, exec_lo, s3
	s_wait_dscnt 0x0
	s_barrier_signal -1
	s_barrier_wait -1
	s_and_saveexec_b32 s2, vcc_lo
	s_cbranch_execz .LBB89_25
; %bb.21:
	v_mov_b32_e32 v0, 0
	s_load_b64 s[2:3], s[0:1], 0x18
	ds_load_b64 v[0:1], v0
	s_wait_kmcnt 0x0
	s_cmp_eq_u64 s[2:3], 0
	s_cbranch_scc1 .LBB89_23
; %bb.22:
	s_load_b64 s[2:3], s[2:3], 0x0
	s_wait_dscnt 0x0
	s_wait_kmcnt 0x0
	v_div_scale_f64 v[2:3], null, s[2:3], s[2:3], v[0:1]
	s_delay_alu instid0(VALU_DEP_1) | instskip(SKIP_1) | instid1(TRANS32_DEP_1)
	v_rcp_f64_e32 v[4:5], v[2:3]
	v_nop
	v_fma_f64 v[6:7], -v[2:3], v[4:5], 1.0
	s_delay_alu instid0(VALU_DEP_1) | instskip(NEXT) | instid1(VALU_DEP_1)
	v_fmac_f64_e32 v[4:5], v[4:5], v[6:7]
	v_fma_f64 v[6:7], -v[2:3], v[4:5], 1.0
	s_delay_alu instid0(VALU_DEP_1) | instskip(SKIP_1) | instid1(VALU_DEP_1)
	v_fmac_f64_e32 v[4:5], v[4:5], v[6:7]
	v_div_scale_f64 v[6:7], vcc_lo, v[0:1], s[2:3], v[0:1]
	v_mul_f64_e32 v[8:9], v[6:7], v[4:5]
	s_delay_alu instid0(VALU_DEP_1) | instskip(NEXT) | instid1(VALU_DEP_1)
	v_fma_f64 v[2:3], -v[2:3], v[8:9], v[6:7]
	v_div_fmas_f64 v[2:3], v[2:3], v[4:5], v[8:9]
	s_delay_alu instid0(VALU_DEP_1)
	v_div_fixup_f64 v[0:1], v[2:3], s[2:3], v[0:1]
.LBB89_23:
	v_mbcnt_lo_u32_b32 v2, exec_lo, 0
	s_delay_alu instid0(VALU_DEP_1)
	v_cmp_eq_u32_e32 vcc_lo, 0, v2
	s_and_b32 exec_lo, exec_lo, vcc_lo
	s_cbranch_execz .LBB89_25
; %bb.24:
	s_load_b64 s[0:1], s[0:1], 0x10
	v_mov_b32_e32 v2, 0
	s_wait_xcnt 0x0
	s_wait_dscnt 0x0
	s_wait_kmcnt 0x0
	global_atomic_max_num_f64 v2, v[0:1], s[0:1] scope:SCOPE_DEV
.LBB89_25:
	s_endpgm
	.section	.rodata,"a",@progbits
	.p2align	6, 0x0
	.amdhsa_kernel _ZN9rocsparseL13kernel_nrminfILj512EdEEvmPKT0_PNS_15floating_traitsIS1_E6data_tEPKS6_
		.amdhsa_group_segment_fixed_size 4096
		.amdhsa_private_segment_fixed_size 0
		.amdhsa_kernarg_size 32
		.amdhsa_user_sgpr_count 2
		.amdhsa_user_sgpr_dispatch_ptr 0
		.amdhsa_user_sgpr_queue_ptr 0
		.amdhsa_user_sgpr_kernarg_segment_ptr 1
		.amdhsa_user_sgpr_dispatch_id 0
		.amdhsa_user_sgpr_kernarg_preload_length 0
		.amdhsa_user_sgpr_kernarg_preload_offset 0
		.amdhsa_user_sgpr_private_segment_size 0
		.amdhsa_wavefront_size32 1
		.amdhsa_uses_dynamic_stack 0
		.amdhsa_enable_private_segment 0
		.amdhsa_system_sgpr_workgroup_id_x 1
		.amdhsa_system_sgpr_workgroup_id_y 0
		.amdhsa_system_sgpr_workgroup_id_z 0
		.amdhsa_system_sgpr_workgroup_info 0
		.amdhsa_system_vgpr_workitem_id 0
		.amdhsa_next_free_vgpr 10
		.amdhsa_next_free_sgpr 7
		.amdhsa_named_barrier_count 0
		.amdhsa_reserve_vcc 1
		.amdhsa_float_round_mode_32 0
		.amdhsa_float_round_mode_16_64 0
		.amdhsa_float_denorm_mode_32 3
		.amdhsa_float_denorm_mode_16_64 3
		.amdhsa_fp16_overflow 0
		.amdhsa_memory_ordered 1
		.amdhsa_forward_progress 1
		.amdhsa_inst_pref_size 8
		.amdhsa_round_robin_scheduling 0
		.amdhsa_exception_fp_ieee_invalid_op 0
		.amdhsa_exception_fp_denorm_src 0
		.amdhsa_exception_fp_ieee_div_zero 0
		.amdhsa_exception_fp_ieee_overflow 0
		.amdhsa_exception_fp_ieee_underflow 0
		.amdhsa_exception_fp_ieee_inexact 0
		.amdhsa_exception_int_div_zero 0
	.end_amdhsa_kernel
	.section	.text._ZN9rocsparseL13kernel_nrminfILj512EdEEvmPKT0_PNS_15floating_traitsIS1_E6data_tEPKS6_,"axG",@progbits,_ZN9rocsparseL13kernel_nrminfILj512EdEEvmPKT0_PNS_15floating_traitsIS1_E6data_tEPKS6_,comdat
.Lfunc_end89:
	.size	_ZN9rocsparseL13kernel_nrminfILj512EdEEvmPKT0_PNS_15floating_traitsIS1_E6data_tEPKS6_, .Lfunc_end89-_ZN9rocsparseL13kernel_nrminfILj512EdEEvmPKT0_PNS_15floating_traitsIS1_E6data_tEPKS6_
                                        ; -- End function
	.set _ZN9rocsparseL13kernel_nrminfILj512EdEEvmPKT0_PNS_15floating_traitsIS1_E6data_tEPKS6_.num_vgpr, 10
	.set _ZN9rocsparseL13kernel_nrminfILj512EdEEvmPKT0_PNS_15floating_traitsIS1_E6data_tEPKS6_.num_agpr, 0
	.set _ZN9rocsparseL13kernel_nrminfILj512EdEEvmPKT0_PNS_15floating_traitsIS1_E6data_tEPKS6_.numbered_sgpr, 7
	.set _ZN9rocsparseL13kernel_nrminfILj512EdEEvmPKT0_PNS_15floating_traitsIS1_E6data_tEPKS6_.num_named_barrier, 0
	.set _ZN9rocsparseL13kernel_nrminfILj512EdEEvmPKT0_PNS_15floating_traitsIS1_E6data_tEPKS6_.private_seg_size, 0
	.set _ZN9rocsparseL13kernel_nrminfILj512EdEEvmPKT0_PNS_15floating_traitsIS1_E6data_tEPKS6_.uses_vcc, 1
	.set _ZN9rocsparseL13kernel_nrminfILj512EdEEvmPKT0_PNS_15floating_traitsIS1_E6data_tEPKS6_.uses_flat_scratch, 0
	.set _ZN9rocsparseL13kernel_nrminfILj512EdEEvmPKT0_PNS_15floating_traitsIS1_E6data_tEPKS6_.has_dyn_sized_stack, 0
	.set _ZN9rocsparseL13kernel_nrminfILj512EdEEvmPKT0_PNS_15floating_traitsIS1_E6data_tEPKS6_.has_recursion, 0
	.set _ZN9rocsparseL13kernel_nrminfILj512EdEEvmPKT0_PNS_15floating_traitsIS1_E6data_tEPKS6_.has_indirect_call, 0
	.section	.AMDGPU.csdata,"",@progbits
; Kernel info:
; codeLenInByte = 960
; TotalNumSgprs: 9
; NumVgprs: 10
; ScratchSize: 0
; MemoryBound: 1
; FloatMode: 240
; IeeeMode: 1
; LDSByteSize: 4096 bytes/workgroup (compile time only)
; SGPRBlocks: 0
; VGPRBlocks: 0
; NumSGPRsForWavesPerEU: 9
; NumVGPRsForWavesPerEU: 10
; NamedBarCnt: 0
; Occupancy: 16
; WaveLimiterHint : 0
; COMPUTE_PGM_RSRC2:SCRATCH_EN: 0
; COMPUTE_PGM_RSRC2:USER_SGPR: 2
; COMPUTE_PGM_RSRC2:TRAP_HANDLER: 0
; COMPUTE_PGM_RSRC2:TGID_X_EN: 1
; COMPUTE_PGM_RSRC2:TGID_Y_EN: 0
; COMPUTE_PGM_RSRC2:TGID_Z_EN: 0
; COMPUTE_PGM_RSRC2:TIDIG_COMP_CNT: 0
	.section	.text._ZN9rocsparseL18kernel_nrminf_diffILj512E21rocsparse_complex_numIfEEEvmPKT0_S5_PNS_15floating_traitsIS3_E6data_tEPKS8_,"axG",@progbits,_ZN9rocsparseL18kernel_nrminf_diffILj512E21rocsparse_complex_numIfEEEvmPKT0_S5_PNS_15floating_traitsIS3_E6data_tEPKS8_,comdat
	.globl	_ZN9rocsparseL18kernel_nrminf_diffILj512E21rocsparse_complex_numIfEEEvmPKT0_S5_PNS_15floating_traitsIS3_E6data_tEPKS8_ ; -- Begin function _ZN9rocsparseL18kernel_nrminf_diffILj512E21rocsparse_complex_numIfEEEvmPKT0_S5_PNS_15floating_traitsIS3_E6data_tEPKS8_
	.p2align	8
	.type	_ZN9rocsparseL18kernel_nrminf_diffILj512E21rocsparse_complex_numIfEEEvmPKT0_S5_PNS_15floating_traitsIS3_E6data_tEPKS8_,@function
_ZN9rocsparseL18kernel_nrminf_diffILj512E21rocsparse_complex_numIfEEEvmPKT0_S5_PNS_15floating_traitsIS3_E6data_tEPKS8_: ; @_ZN9rocsparseL18kernel_nrminf_diffILj512E21rocsparse_complex_numIfEEEvmPKT0_S5_PNS_15floating_traitsIS3_E6data_tEPKS8_
; %bb.0:
	s_load_b64 s[2:3], s[0:1], 0x0
	s_bfe_u32 s4, ttmp6, 0x4000c
	s_and_b32 s5, ttmp6, 15
	s_add_co_i32 s4, s4, 1
	s_getreg_b32 s6, hwreg(HW_REG_IB_STS2, 6, 4)
	s_mul_i32 s4, ttmp9, s4
	v_mov_b32_e32 v3, 0
	s_add_co_i32 s5, s5, s4
	s_cmp_eq_u32 s6, 0
	s_cselect_b32 s4, ttmp9, s5
	s_delay_alu instid0(SALU_CYCLE_1) | instskip(SKIP_1) | instid1(VALU_DEP_1)
	v_lshl_or_b32 v2, s4, 9, v0
	s_wait_kmcnt 0x0
	v_cmp_gt_u64_e32 vcc_lo, s[2:3], v[2:3]
	s_and_saveexec_b32 s3, vcc_lo
	s_cbranch_execz .LBB90_8
; %bb.1:
	s_load_b128 s[4:7], s[0:1], 0x8
	v_lshlrev_b64_e32 v[2:3], 3, v[2:3]
	s_mov_b32 s2, exec_lo
	s_wait_kmcnt 0x0
	s_delay_alu instid0(VALU_DEP_1)
	v_add_nc_u64_e32 v[4:5], s[4:5], v[2:3]
	v_add_nc_u64_e32 v[2:3], s[6:7], v[2:3]
	global_load_b64 v[6:7], v[4:5], off
	global_load_b64 v[8:9], v[2:3], off
                                        ; implicit-def: $vgpr3
	s_wait_loadcnt 0x0
	v_dual_sub_f32 v1, v6, v8 :: v_dual_sub_f32 v4, v7, v9
	s_delay_alu instid0(VALU_DEP_1) | instskip(SKIP_1) | instid1(VALU_DEP_3)
	v_cmp_gt_f32_e32 vcc_lo, 0, v1
	v_cndmask_b32_e64 v1, v1, -v1, vcc_lo
	v_cmp_gt_f32_e32 vcc_lo, 0, v4
	v_cndmask_b32_e64 v2, v4, -v4, vcc_lo
	s_delay_alu instid0(VALU_DEP_1)
	v_cmpx_ngt_f32_e32 v1, v2
	s_xor_b32 s4, exec_lo, s2
	s_cbranch_execz .LBB90_5
; %bb.2:
	v_mov_b32_e32 v3, 0
	s_mov_b32 s5, exec_lo
	v_cmpx_neq_f32_e32 0, v4
	s_cbranch_execz .LBB90_4
; %bb.3:
	v_div_scale_f32 v3, null, v2, v2, v1
	v_div_scale_f32 v6, vcc_lo, v1, v2, v1
	s_delay_alu instid0(VALU_DEP_2) | instskip(SKIP_1) | instid1(TRANS32_DEP_1)
	v_rcp_f32_e32 v4, v3
	v_nop
	v_fma_f32 v5, -v3, v4, 1.0
	s_delay_alu instid0(VALU_DEP_1) | instskip(NEXT) | instid1(VALU_DEP_1)
	v_fmac_f32_e32 v4, v5, v4
	v_mul_f32_e32 v5, v6, v4
	s_delay_alu instid0(VALU_DEP_1) | instskip(NEXT) | instid1(VALU_DEP_1)
	v_fma_f32 v7, -v3, v5, v6
	v_fmac_f32_e32 v5, v7, v4
	s_delay_alu instid0(VALU_DEP_1) | instskip(NEXT) | instid1(VALU_DEP_1)
	v_fma_f32 v3, -v3, v5, v6
	v_div_fmas_f32 v3, v3, v4, v5
	s_delay_alu instid0(VALU_DEP_1) | instskip(NEXT) | instid1(VALU_DEP_1)
	v_div_fixup_f32 v1, v3, v2, v1
	v_fma_f32 v1, v1, v1, 1.0
	s_delay_alu instid0(VALU_DEP_1) | instskip(SKIP_1) | instid1(VALU_DEP_2)
	v_mul_f32_e32 v3, 0x4f800000, v1
	v_cmp_gt_f32_e32 vcc_lo, 0xf800000, v1
	v_cndmask_b32_e32 v1, v1, v3, vcc_lo
	s_delay_alu instid0(VALU_DEP_1) | instskip(SKIP_1) | instid1(TRANS32_DEP_1)
	v_sqrt_f32_e32 v3, v1
	v_nop
	v_dual_add_nc_u32 v4, -1, v3 :: v_dual_add_nc_u32 v5, 1, v3
	s_delay_alu instid0(VALU_DEP_1) | instskip(NEXT) | instid1(VALU_DEP_1)
	v_fma_f32 v6, -v4, v3, v1
	v_cmp_ge_f32_e64 s2, 0, v6
	s_delay_alu instid0(VALU_DEP_1) | instskip(NEXT) | instid1(VALU_DEP_1)
	v_dual_fma_f32 v7, -v5, v3, v1 :: v_dual_cndmask_b32 v3, v3, v4, s2
	v_cmp_lt_f32_e64 s2, 0, v7
	s_delay_alu instid0(VALU_DEP_1) | instskip(NEXT) | instid1(VALU_DEP_1)
	v_cndmask_b32_e64 v3, v3, v5, s2
	v_mul_f32_e32 v4, 0x37800000, v3
	s_delay_alu instid0(VALU_DEP_1) | instskip(SKIP_1) | instid1(VALU_DEP_2)
	v_cndmask_b32_e32 v3, v3, v4, vcc_lo
	v_cmp_class_f32_e64 vcc_lo, v1, 0x260
	v_cndmask_b32_e32 v1, v3, v1, vcc_lo
	s_delay_alu instid0(VALU_DEP_1)
	v_mul_f32_e32 v3, v2, v1
.LBB90_4:
	s_or_b32 exec_lo, exec_lo, s5
                                        ; implicit-def: $vgpr1
                                        ; implicit-def: $vgpr2
.LBB90_5:
	s_and_not1_saveexec_b32 s4, s4
	s_cbranch_execz .LBB90_7
; %bb.6:
	v_div_scale_f32 v3, null, v1, v1, v2
	v_div_scale_f32 v6, vcc_lo, v2, v1, v2
	s_delay_alu instid0(VALU_DEP_2) | instskip(SKIP_1) | instid1(TRANS32_DEP_1)
	v_rcp_f32_e32 v4, v3
	v_nop
	v_fma_f32 v5, -v3, v4, 1.0
	s_delay_alu instid0(VALU_DEP_1) | instskip(NEXT) | instid1(VALU_DEP_1)
	v_fmac_f32_e32 v4, v5, v4
	v_mul_f32_e32 v5, v6, v4
	s_delay_alu instid0(VALU_DEP_1) | instskip(NEXT) | instid1(VALU_DEP_1)
	v_fma_f32 v7, -v3, v5, v6
	v_fmac_f32_e32 v5, v7, v4
	s_delay_alu instid0(VALU_DEP_1) | instskip(NEXT) | instid1(VALU_DEP_1)
	v_fma_f32 v3, -v3, v5, v6
	v_div_fmas_f32 v3, v3, v4, v5
	s_delay_alu instid0(VALU_DEP_1) | instskip(NEXT) | instid1(VALU_DEP_1)
	v_div_fixup_f32 v2, v3, v1, v2
	v_fma_f32 v2, v2, v2, 1.0
	s_delay_alu instid0(VALU_DEP_1) | instskip(SKIP_1) | instid1(VALU_DEP_2)
	v_mul_f32_e32 v3, 0x4f800000, v2
	v_cmp_gt_f32_e32 vcc_lo, 0xf800000, v2
	v_cndmask_b32_e32 v2, v2, v3, vcc_lo
	s_delay_alu instid0(VALU_DEP_1) | instskip(SKIP_1) | instid1(TRANS32_DEP_1)
	v_sqrt_f32_e32 v3, v2
	v_nop
	v_dual_add_nc_u32 v4, -1, v3 :: v_dual_add_nc_u32 v5, 1, v3
	s_delay_alu instid0(VALU_DEP_1) | instskip(NEXT) | instid1(VALU_DEP_1)
	v_fma_f32 v6, -v4, v3, v2
	v_cmp_ge_f32_e64 s2, 0, v6
	s_delay_alu instid0(VALU_DEP_1) | instskip(NEXT) | instid1(VALU_DEP_1)
	v_dual_fma_f32 v7, -v5, v3, v2 :: v_dual_cndmask_b32 v3, v3, v4, s2
	v_cmp_lt_f32_e64 s2, 0, v7
	s_delay_alu instid0(VALU_DEP_1) | instskip(NEXT) | instid1(VALU_DEP_1)
	v_cndmask_b32_e64 v3, v3, v5, s2
	v_mul_f32_e32 v4, 0x37800000, v3
	s_delay_alu instid0(VALU_DEP_1) | instskip(SKIP_1) | instid1(VALU_DEP_2)
	v_cndmask_b32_e32 v3, v3, v4, vcc_lo
	v_cmp_class_f32_e64 vcc_lo, v2, 0x260
	v_cndmask_b32_e32 v2, v3, v2, vcc_lo
	s_delay_alu instid0(VALU_DEP_1)
	v_mul_f32_e32 v3, v1, v2
.LBB90_7:
	s_or_b32 exec_lo, exec_lo, s4
.LBB90_8:
	s_delay_alu instid0(SALU_CYCLE_1)
	s_or_b32 exec_lo, exec_lo, s3
	v_lshlrev_b32_e32 v1, 2, v0
	s_mov_b32 s2, exec_lo
	ds_store_b32 v1, v3
	s_wait_dscnt 0x0
	s_barrier_signal -1
	s_barrier_wait -1
	v_cmpx_gt_u32_e32 0x100, v0
	s_cbranch_execz .LBB90_10
; %bb.9:
	ds_load_2addr_stride64_b32 v[2:3], v1 offset1:4
	s_wait_dscnt 0x0
	v_cmp_lt_f32_e32 vcc_lo, v2, v3
	v_cndmask_b32_e32 v2, v2, v3, vcc_lo
	ds_store_b32 v1, v2
.LBB90_10:
	s_or_b32 exec_lo, exec_lo, s2
	s_delay_alu instid0(SALU_CYCLE_1)
	s_mov_b32 s2, exec_lo
	s_wait_dscnt 0x0
	s_barrier_signal -1
	s_barrier_wait -1
	v_cmpx_gt_u32_e32 0x80, v0
	s_cbranch_execz .LBB90_12
; %bb.11:
	ds_load_2addr_stride64_b32 v[2:3], v1 offset1:2
	s_wait_dscnt 0x0
	v_cmp_lt_f32_e32 vcc_lo, v2, v3
	v_cndmask_b32_e32 v2, v2, v3, vcc_lo
	ds_store_b32 v1, v2
.LBB90_12:
	s_or_b32 exec_lo, exec_lo, s2
	s_delay_alu instid0(SALU_CYCLE_1)
	s_mov_b32 s2, exec_lo
	;; [unrolled: 15-line block ×3, first 2 shown]
	s_wait_dscnt 0x0
	s_barrier_signal -1
	s_barrier_wait -1
	v_cmpx_gt_u32_e32 32, v0
	s_cbranch_execz .LBB90_16
; %bb.15:
	ds_load_2addr_b32 v[2:3], v1 offset1:32
	s_wait_dscnt 0x0
	v_cmp_lt_f32_e32 vcc_lo, v2, v3
	v_cndmask_b32_e32 v2, v2, v3, vcc_lo
	ds_store_b32 v1, v2
.LBB90_16:
	s_or_b32 exec_lo, exec_lo, s2
	s_delay_alu instid0(SALU_CYCLE_1)
	s_mov_b32 s2, exec_lo
	s_wait_dscnt 0x0
	s_barrier_signal -1
	s_barrier_wait -1
	v_cmpx_gt_u32_e32 16, v0
	s_cbranch_execz .LBB90_18
; %bb.17:
	ds_load_2addr_b32 v[2:3], v1 offset1:16
	s_wait_dscnt 0x0
	v_cmp_lt_f32_e32 vcc_lo, v2, v3
	v_cndmask_b32_e32 v2, v2, v3, vcc_lo
	ds_store_b32 v1, v2
.LBB90_18:
	s_or_b32 exec_lo, exec_lo, s2
	s_delay_alu instid0(SALU_CYCLE_1)
	s_mov_b32 s2, exec_lo
	;; [unrolled: 15-line block ×4, first 2 shown]
	s_wait_dscnt 0x0
	s_barrier_signal -1
	s_barrier_wait -1
	v_cmpx_gt_u32_e32 2, v0
	s_cbranch_execz .LBB90_24
; %bb.23:
	ds_load_2addr_b32 v[2:3], v1 offset1:2
	s_wait_dscnt 0x0
	v_cmp_lt_f32_e32 vcc_lo, v2, v3
	v_cndmask_b32_e32 v2, v2, v3, vcc_lo
	ds_store_b32 v1, v2
.LBB90_24:
	s_or_b32 exec_lo, exec_lo, s2
	v_cmp_eq_u32_e32 vcc_lo, 0, v0
	s_wait_dscnt 0x0
	s_barrier_signal -1
	s_barrier_wait -1
	s_and_saveexec_b32 s3, vcc_lo
	s_cbranch_execz .LBB90_26
; %bb.25:
	v_mov_b32_e32 v2, 0
	ds_load_b64 v[0:1], v2
	s_wait_dscnt 0x0
	v_cmp_lt_f32_e64 s2, v0, v1
	s_delay_alu instid0(VALU_DEP_1)
	v_cndmask_b32_e64 v0, v0, v1, s2
	ds_store_b32 v2, v0
.LBB90_26:
	s_or_b32 exec_lo, exec_lo, s3
	s_wait_dscnt 0x0
	s_barrier_signal -1
	s_barrier_wait -1
	s_and_saveexec_b32 s2, vcc_lo
	s_cbranch_execz .LBB90_31
; %bb.27:
	v_mov_b32_e32 v0, 0
	s_load_b64 s[2:3], s[0:1], 0x20
	ds_load_b32 v0, v0
	s_wait_kmcnt 0x0
	s_cmp_eq_u64 s[2:3], 0
	s_cbranch_scc1 .LBB90_29
; %bb.28:
	s_load_b32 s2, s[2:3], 0x0
	s_wait_dscnt 0x0
	s_wait_kmcnt 0x0
	v_div_scale_f32 v1, null, s2, s2, v0
	s_delay_alu instid0(VALU_DEP_1)
	v_rcp_f32_e32 v2, v1
	v_nop
	v_xor_b32_e32 v1, 0x80000000, v1
	s_delay_alu instid0(TRANS32_DEP_1) | instid1(VALU_DEP_1)
	v_fma_f32 v3, v1, v2, 1.0
	s_delay_alu instid0(VALU_DEP_1) | instskip(SKIP_1) | instid1(VALU_DEP_1)
	v_fmac_f32_e32 v2, v3, v2
	v_div_scale_f32 v3, vcc_lo, v0, s2, v0
	v_mul_f32_e32 v4, v3, v2
	s_delay_alu instid0(VALU_DEP_1) | instskip(NEXT) | instid1(VALU_DEP_1)
	v_fma_f32 v5, v1, v4, v3
	v_fmac_f32_e32 v4, v5, v2
	s_delay_alu instid0(VALU_DEP_1) | instskip(NEXT) | instid1(VALU_DEP_1)
	v_fmac_f32_e32 v3, v1, v4
	v_div_fmas_f32 v1, v3, v2, v4
	s_delay_alu instid0(VALU_DEP_1)
	v_div_fixup_f32 v0, v1, s2, v0
.LBB90_29:
	v_mbcnt_lo_u32_b32 v1, exec_lo, 0
	s_delay_alu instid0(VALU_DEP_1)
	v_cmp_eq_u32_e32 vcc_lo, 0, v1
	s_and_b32 exec_lo, exec_lo, vcc_lo
	s_cbranch_execz .LBB90_31
; %bb.30:
	s_load_b64 s[0:1], s[0:1], 0x18
	v_mov_b32_e32 v1, 0
	s_wait_xcnt 0x0
	s_wait_dscnt 0x0
	s_wait_kmcnt 0x0
	global_atomic_max_num_f32 v1, v0, s[0:1] scope:SCOPE_DEV
.LBB90_31:
	s_endpgm
	.section	.rodata,"a",@progbits
	.p2align	6, 0x0
	.amdhsa_kernel _ZN9rocsparseL18kernel_nrminf_diffILj512E21rocsparse_complex_numIfEEEvmPKT0_S5_PNS_15floating_traitsIS3_E6data_tEPKS8_
		.amdhsa_group_segment_fixed_size 2048
		.amdhsa_private_segment_fixed_size 0
		.amdhsa_kernarg_size 40
		.amdhsa_user_sgpr_count 2
		.amdhsa_user_sgpr_dispatch_ptr 0
		.amdhsa_user_sgpr_queue_ptr 0
		.amdhsa_user_sgpr_kernarg_segment_ptr 1
		.amdhsa_user_sgpr_dispatch_id 0
		.amdhsa_user_sgpr_kernarg_preload_length 0
		.amdhsa_user_sgpr_kernarg_preload_offset 0
		.amdhsa_user_sgpr_private_segment_size 0
		.amdhsa_wavefront_size32 1
		.amdhsa_uses_dynamic_stack 0
		.amdhsa_enable_private_segment 0
		.amdhsa_system_sgpr_workgroup_id_x 1
		.amdhsa_system_sgpr_workgroup_id_y 0
		.amdhsa_system_sgpr_workgroup_id_z 0
		.amdhsa_system_sgpr_workgroup_info 0
		.amdhsa_system_vgpr_workitem_id 0
		.amdhsa_next_free_vgpr 10
		.amdhsa_next_free_sgpr 8
		.amdhsa_named_barrier_count 0
		.amdhsa_reserve_vcc 1
		.amdhsa_float_round_mode_32 0
		.amdhsa_float_round_mode_16_64 0
		.amdhsa_float_denorm_mode_32 3
		.amdhsa_float_denorm_mode_16_64 3
		.amdhsa_fp16_overflow 0
		.amdhsa_memory_ordered 1
		.amdhsa_forward_progress 1
		.amdhsa_inst_pref_size 12
		.amdhsa_round_robin_scheduling 0
		.amdhsa_exception_fp_ieee_invalid_op 0
		.amdhsa_exception_fp_denorm_src 0
		.amdhsa_exception_fp_ieee_div_zero 0
		.amdhsa_exception_fp_ieee_overflow 0
		.amdhsa_exception_fp_ieee_underflow 0
		.amdhsa_exception_fp_ieee_inexact 0
		.amdhsa_exception_int_div_zero 0
	.end_amdhsa_kernel
	.section	.text._ZN9rocsparseL18kernel_nrminf_diffILj512E21rocsparse_complex_numIfEEEvmPKT0_S5_PNS_15floating_traitsIS3_E6data_tEPKS8_,"axG",@progbits,_ZN9rocsparseL18kernel_nrminf_diffILj512E21rocsparse_complex_numIfEEEvmPKT0_S5_PNS_15floating_traitsIS3_E6data_tEPKS8_,comdat
.Lfunc_end90:
	.size	_ZN9rocsparseL18kernel_nrminf_diffILj512E21rocsparse_complex_numIfEEEvmPKT0_S5_PNS_15floating_traitsIS3_E6data_tEPKS8_, .Lfunc_end90-_ZN9rocsparseL18kernel_nrminf_diffILj512E21rocsparse_complex_numIfEEEvmPKT0_S5_PNS_15floating_traitsIS3_E6data_tEPKS8_
                                        ; -- End function
	.set _ZN9rocsparseL18kernel_nrminf_diffILj512E21rocsparse_complex_numIfEEEvmPKT0_S5_PNS_15floating_traitsIS3_E6data_tEPKS8_.num_vgpr, 10
	.set _ZN9rocsparseL18kernel_nrminf_diffILj512E21rocsparse_complex_numIfEEEvmPKT0_S5_PNS_15floating_traitsIS3_E6data_tEPKS8_.num_agpr, 0
	.set _ZN9rocsparseL18kernel_nrminf_diffILj512E21rocsparse_complex_numIfEEEvmPKT0_S5_PNS_15floating_traitsIS3_E6data_tEPKS8_.numbered_sgpr, 8
	.set _ZN9rocsparseL18kernel_nrminf_diffILj512E21rocsparse_complex_numIfEEEvmPKT0_S5_PNS_15floating_traitsIS3_E6data_tEPKS8_.num_named_barrier, 0
	.set _ZN9rocsparseL18kernel_nrminf_diffILj512E21rocsparse_complex_numIfEEEvmPKT0_S5_PNS_15floating_traitsIS3_E6data_tEPKS8_.private_seg_size, 0
	.set _ZN9rocsparseL18kernel_nrminf_diffILj512E21rocsparse_complex_numIfEEEvmPKT0_S5_PNS_15floating_traitsIS3_E6data_tEPKS8_.uses_vcc, 1
	.set _ZN9rocsparseL18kernel_nrminf_diffILj512E21rocsparse_complex_numIfEEEvmPKT0_S5_PNS_15floating_traitsIS3_E6data_tEPKS8_.uses_flat_scratch, 0
	.set _ZN9rocsparseL18kernel_nrminf_diffILj512E21rocsparse_complex_numIfEEEvmPKT0_S5_PNS_15floating_traitsIS3_E6data_tEPKS8_.has_dyn_sized_stack, 0
	.set _ZN9rocsparseL18kernel_nrminf_diffILj512E21rocsparse_complex_numIfEEEvmPKT0_S5_PNS_15floating_traitsIS3_E6data_tEPKS8_.has_recursion, 0
	.set _ZN9rocsparseL18kernel_nrminf_diffILj512E21rocsparse_complex_numIfEEEvmPKT0_S5_PNS_15floating_traitsIS3_E6data_tEPKS8_.has_indirect_call, 0
	.section	.AMDGPU.csdata,"",@progbits
; Kernel info:
; codeLenInByte = 1528
; TotalNumSgprs: 10
; NumVgprs: 10
; ScratchSize: 0
; MemoryBound: 0
; FloatMode: 240
; IeeeMode: 1
; LDSByteSize: 2048 bytes/workgroup (compile time only)
; SGPRBlocks: 0
; VGPRBlocks: 0
; NumSGPRsForWavesPerEU: 10
; NumVGPRsForWavesPerEU: 10
; NamedBarCnt: 0
; Occupancy: 16
; WaveLimiterHint : 0
; COMPUTE_PGM_RSRC2:SCRATCH_EN: 0
; COMPUTE_PGM_RSRC2:USER_SGPR: 2
; COMPUTE_PGM_RSRC2:TRAP_HANDLER: 0
; COMPUTE_PGM_RSRC2:TGID_X_EN: 1
; COMPUTE_PGM_RSRC2:TGID_Y_EN: 0
; COMPUTE_PGM_RSRC2:TGID_Z_EN: 0
; COMPUTE_PGM_RSRC2:TIDIG_COMP_CNT: 0
	.section	.text._ZN9rocsparseL13kernel_nrminfILj512E21rocsparse_complex_numIfEEEvmPKT0_PNS_15floating_traitsIS3_E6data_tEPKS8_,"axG",@progbits,_ZN9rocsparseL13kernel_nrminfILj512E21rocsparse_complex_numIfEEEvmPKT0_PNS_15floating_traitsIS3_E6data_tEPKS8_,comdat
	.globl	_ZN9rocsparseL13kernel_nrminfILj512E21rocsparse_complex_numIfEEEvmPKT0_PNS_15floating_traitsIS3_E6data_tEPKS8_ ; -- Begin function _ZN9rocsparseL13kernel_nrminfILj512E21rocsparse_complex_numIfEEEvmPKT0_PNS_15floating_traitsIS3_E6data_tEPKS8_
	.p2align	8
	.type	_ZN9rocsparseL13kernel_nrminfILj512E21rocsparse_complex_numIfEEEvmPKT0_PNS_15floating_traitsIS3_E6data_tEPKS8_,@function
_ZN9rocsparseL13kernel_nrminfILj512E21rocsparse_complex_numIfEEEvmPKT0_PNS_15floating_traitsIS3_E6data_tEPKS8_: ; @_ZN9rocsparseL13kernel_nrminfILj512E21rocsparse_complex_numIfEEEvmPKT0_PNS_15floating_traitsIS3_E6data_tEPKS8_
; %bb.0:
	s_load_b64 s[2:3], s[0:1], 0x0
	s_bfe_u32 s4, ttmp6, 0x4000c
	s_and_b32 s5, ttmp6, 15
	s_add_co_i32 s4, s4, 1
	s_getreg_b32 s6, hwreg(HW_REG_IB_STS2, 6, 4)
	s_mul_i32 s4, ttmp9, s4
	v_mov_b32_e32 v3, 0
	s_add_co_i32 s5, s5, s4
	s_cmp_eq_u32 s6, 0
	s_cselect_b32 s4, ttmp9, s5
	s_delay_alu instid0(SALU_CYCLE_1) | instskip(SKIP_1) | instid1(VALU_DEP_1)
	v_lshl_or_b32 v2, s4, 9, v0
	s_wait_kmcnt 0x0
	v_cmp_gt_u64_e32 vcc_lo, s[2:3], v[2:3]
	s_and_saveexec_b32 s3, vcc_lo
	s_cbranch_execz .LBB91_8
; %bb.1:
	s_load_b64 s[4:5], s[0:1], 0x8
	s_mov_b32 s2, exec_lo
	s_wait_kmcnt 0x0
	v_lshl_add_u64 v[2:3], v[2:3], 3, s[4:5]
	global_load_b64 v[4:5], v[2:3], off
                                        ; implicit-def: $vgpr3
	s_wait_loadcnt 0x0
	v_cmp_gt_f32_e32 vcc_lo, 0, v4
	v_cndmask_b32_e64 v1, v4, -v4, vcc_lo
	v_cmp_gt_f32_e32 vcc_lo, 0, v5
	v_cndmask_b32_e64 v2, v5, -v5, vcc_lo
	s_delay_alu instid0(VALU_DEP_1)
	v_cmpx_ngt_f32_e32 v1, v2
	s_xor_b32 s4, exec_lo, s2
	s_cbranch_execz .LBB91_5
; %bb.2:
	v_mov_b32_e32 v3, 0
	s_mov_b32 s5, exec_lo
	v_cmpx_neq_f32_e32 0, v5
	s_cbranch_execz .LBB91_4
; %bb.3:
	v_div_scale_f32 v3, null, v2, v2, v1
	v_div_scale_f32 v6, vcc_lo, v1, v2, v1
	s_delay_alu instid0(VALU_DEP_2) | instskip(SKIP_1) | instid1(TRANS32_DEP_1)
	v_rcp_f32_e32 v4, v3
	v_nop
	v_fma_f32 v5, -v3, v4, 1.0
	s_delay_alu instid0(VALU_DEP_1) | instskip(NEXT) | instid1(VALU_DEP_1)
	v_fmac_f32_e32 v4, v5, v4
	v_mul_f32_e32 v5, v6, v4
	s_delay_alu instid0(VALU_DEP_1) | instskip(NEXT) | instid1(VALU_DEP_1)
	v_fma_f32 v7, -v3, v5, v6
	v_fmac_f32_e32 v5, v7, v4
	s_delay_alu instid0(VALU_DEP_1) | instskip(NEXT) | instid1(VALU_DEP_1)
	v_fma_f32 v3, -v3, v5, v6
	v_div_fmas_f32 v3, v3, v4, v5
	s_delay_alu instid0(VALU_DEP_1) | instskip(NEXT) | instid1(VALU_DEP_1)
	v_div_fixup_f32 v1, v3, v2, v1
	v_fma_f32 v1, v1, v1, 1.0
	s_delay_alu instid0(VALU_DEP_1) | instskip(SKIP_1) | instid1(VALU_DEP_2)
	v_mul_f32_e32 v3, 0x4f800000, v1
	v_cmp_gt_f32_e32 vcc_lo, 0xf800000, v1
	v_cndmask_b32_e32 v1, v1, v3, vcc_lo
	s_delay_alu instid0(VALU_DEP_1) | instskip(SKIP_1) | instid1(TRANS32_DEP_1)
	v_sqrt_f32_e32 v3, v1
	v_nop
	v_dual_add_nc_u32 v4, -1, v3 :: v_dual_add_nc_u32 v5, 1, v3
	s_delay_alu instid0(VALU_DEP_1) | instskip(NEXT) | instid1(VALU_DEP_1)
	v_fma_f32 v6, -v4, v3, v1
	v_cmp_ge_f32_e64 s2, 0, v6
	s_delay_alu instid0(VALU_DEP_1) | instskip(NEXT) | instid1(VALU_DEP_1)
	v_dual_fma_f32 v7, -v5, v3, v1 :: v_dual_cndmask_b32 v3, v3, v4, s2
	v_cmp_lt_f32_e64 s2, 0, v7
	s_delay_alu instid0(VALU_DEP_1) | instskip(NEXT) | instid1(VALU_DEP_1)
	v_cndmask_b32_e64 v3, v3, v5, s2
	v_mul_f32_e32 v4, 0x37800000, v3
	s_delay_alu instid0(VALU_DEP_1) | instskip(SKIP_1) | instid1(VALU_DEP_2)
	v_cndmask_b32_e32 v3, v3, v4, vcc_lo
	v_cmp_class_f32_e64 vcc_lo, v1, 0x260
	v_cndmask_b32_e32 v1, v3, v1, vcc_lo
	s_delay_alu instid0(VALU_DEP_1)
	v_mul_f32_e32 v3, v2, v1
.LBB91_4:
	s_or_b32 exec_lo, exec_lo, s5
                                        ; implicit-def: $vgpr1
                                        ; implicit-def: $vgpr2
.LBB91_5:
	s_and_not1_saveexec_b32 s4, s4
	s_cbranch_execz .LBB91_7
; %bb.6:
	v_div_scale_f32 v3, null, v1, v1, v2
	v_div_scale_f32 v6, vcc_lo, v2, v1, v2
	s_delay_alu instid0(VALU_DEP_2) | instskip(SKIP_1) | instid1(TRANS32_DEP_1)
	v_rcp_f32_e32 v4, v3
	v_nop
	v_fma_f32 v5, -v3, v4, 1.0
	s_delay_alu instid0(VALU_DEP_1) | instskip(NEXT) | instid1(VALU_DEP_1)
	v_fmac_f32_e32 v4, v5, v4
	v_mul_f32_e32 v5, v6, v4
	s_delay_alu instid0(VALU_DEP_1) | instskip(NEXT) | instid1(VALU_DEP_1)
	v_fma_f32 v7, -v3, v5, v6
	v_fmac_f32_e32 v5, v7, v4
	s_delay_alu instid0(VALU_DEP_1) | instskip(NEXT) | instid1(VALU_DEP_1)
	v_fma_f32 v3, -v3, v5, v6
	v_div_fmas_f32 v3, v3, v4, v5
	s_delay_alu instid0(VALU_DEP_1) | instskip(NEXT) | instid1(VALU_DEP_1)
	v_div_fixup_f32 v2, v3, v1, v2
	v_fma_f32 v2, v2, v2, 1.0
	s_delay_alu instid0(VALU_DEP_1) | instskip(SKIP_1) | instid1(VALU_DEP_2)
	v_mul_f32_e32 v3, 0x4f800000, v2
	v_cmp_gt_f32_e32 vcc_lo, 0xf800000, v2
	v_cndmask_b32_e32 v2, v2, v3, vcc_lo
	s_delay_alu instid0(VALU_DEP_1) | instskip(SKIP_1) | instid1(TRANS32_DEP_1)
	v_sqrt_f32_e32 v3, v2
	v_nop
	v_dual_add_nc_u32 v4, -1, v3 :: v_dual_add_nc_u32 v5, 1, v3
	s_delay_alu instid0(VALU_DEP_1) | instskip(NEXT) | instid1(VALU_DEP_1)
	v_fma_f32 v6, -v4, v3, v2
	v_cmp_ge_f32_e64 s2, 0, v6
	s_delay_alu instid0(VALU_DEP_1) | instskip(NEXT) | instid1(VALU_DEP_1)
	v_dual_fma_f32 v7, -v5, v3, v2 :: v_dual_cndmask_b32 v3, v3, v4, s2
	v_cmp_lt_f32_e64 s2, 0, v7
	s_delay_alu instid0(VALU_DEP_1) | instskip(NEXT) | instid1(VALU_DEP_1)
	v_cndmask_b32_e64 v3, v3, v5, s2
	v_mul_f32_e32 v4, 0x37800000, v3
	s_delay_alu instid0(VALU_DEP_1) | instskip(SKIP_1) | instid1(VALU_DEP_2)
	v_cndmask_b32_e32 v3, v3, v4, vcc_lo
	v_cmp_class_f32_e64 vcc_lo, v2, 0x260
	v_cndmask_b32_e32 v2, v3, v2, vcc_lo
	s_delay_alu instid0(VALU_DEP_1)
	v_mul_f32_e32 v3, v1, v2
.LBB91_7:
	s_or_b32 exec_lo, exec_lo, s4
.LBB91_8:
	s_delay_alu instid0(SALU_CYCLE_1)
	s_or_b32 exec_lo, exec_lo, s3
	v_lshlrev_b32_e32 v1, 2, v0
	s_mov_b32 s2, exec_lo
	ds_store_b32 v1, v3
	s_wait_dscnt 0x0
	s_barrier_signal -1
	s_barrier_wait -1
	v_cmpx_gt_u32_e32 0x100, v0
	s_cbranch_execz .LBB91_10
; %bb.9:
	ds_load_2addr_stride64_b32 v[2:3], v1 offset1:4
	s_wait_dscnt 0x0
	v_cmp_lt_f32_e32 vcc_lo, v2, v3
	v_cndmask_b32_e32 v2, v2, v3, vcc_lo
	ds_store_b32 v1, v2
.LBB91_10:
	s_or_b32 exec_lo, exec_lo, s2
	s_delay_alu instid0(SALU_CYCLE_1)
	s_mov_b32 s2, exec_lo
	s_wait_dscnt 0x0
	s_barrier_signal -1
	s_barrier_wait -1
	v_cmpx_gt_u32_e32 0x80, v0
	s_cbranch_execz .LBB91_12
; %bb.11:
	ds_load_2addr_stride64_b32 v[2:3], v1 offset1:2
	s_wait_dscnt 0x0
	v_cmp_lt_f32_e32 vcc_lo, v2, v3
	v_cndmask_b32_e32 v2, v2, v3, vcc_lo
	ds_store_b32 v1, v2
.LBB91_12:
	s_or_b32 exec_lo, exec_lo, s2
	s_delay_alu instid0(SALU_CYCLE_1)
	s_mov_b32 s2, exec_lo
	;; [unrolled: 15-line block ×3, first 2 shown]
	s_wait_dscnt 0x0
	s_barrier_signal -1
	s_barrier_wait -1
	v_cmpx_gt_u32_e32 32, v0
	s_cbranch_execz .LBB91_16
; %bb.15:
	ds_load_2addr_b32 v[2:3], v1 offset1:32
	s_wait_dscnt 0x0
	v_cmp_lt_f32_e32 vcc_lo, v2, v3
	v_cndmask_b32_e32 v2, v2, v3, vcc_lo
	ds_store_b32 v1, v2
.LBB91_16:
	s_or_b32 exec_lo, exec_lo, s2
	s_delay_alu instid0(SALU_CYCLE_1)
	s_mov_b32 s2, exec_lo
	s_wait_dscnt 0x0
	s_barrier_signal -1
	s_barrier_wait -1
	v_cmpx_gt_u32_e32 16, v0
	s_cbranch_execz .LBB91_18
; %bb.17:
	ds_load_2addr_b32 v[2:3], v1 offset1:16
	s_wait_dscnt 0x0
	v_cmp_lt_f32_e32 vcc_lo, v2, v3
	v_cndmask_b32_e32 v2, v2, v3, vcc_lo
	ds_store_b32 v1, v2
.LBB91_18:
	s_or_b32 exec_lo, exec_lo, s2
	s_delay_alu instid0(SALU_CYCLE_1)
	s_mov_b32 s2, exec_lo
	;; [unrolled: 15-line block ×4, first 2 shown]
	s_wait_dscnt 0x0
	s_barrier_signal -1
	s_barrier_wait -1
	v_cmpx_gt_u32_e32 2, v0
	s_cbranch_execz .LBB91_24
; %bb.23:
	ds_load_2addr_b32 v[2:3], v1 offset1:2
	s_wait_dscnt 0x0
	v_cmp_lt_f32_e32 vcc_lo, v2, v3
	v_cndmask_b32_e32 v2, v2, v3, vcc_lo
	ds_store_b32 v1, v2
.LBB91_24:
	s_or_b32 exec_lo, exec_lo, s2
	v_cmp_eq_u32_e32 vcc_lo, 0, v0
	s_wait_dscnt 0x0
	s_barrier_signal -1
	s_barrier_wait -1
	s_and_saveexec_b32 s3, vcc_lo
	s_cbranch_execz .LBB91_26
; %bb.25:
	v_mov_b32_e32 v2, 0
	ds_load_b64 v[0:1], v2
	s_wait_dscnt 0x0
	v_cmp_lt_f32_e64 s2, v0, v1
	s_delay_alu instid0(VALU_DEP_1)
	v_cndmask_b32_e64 v0, v0, v1, s2
	ds_store_b32 v2, v0
.LBB91_26:
	s_or_b32 exec_lo, exec_lo, s3
	s_wait_dscnt 0x0
	s_barrier_signal -1
	s_barrier_wait -1
	s_and_saveexec_b32 s2, vcc_lo
	s_cbranch_execz .LBB91_31
; %bb.27:
	v_mov_b32_e32 v0, 0
	s_load_b64 s[2:3], s[0:1], 0x18
	ds_load_b32 v0, v0
	s_wait_kmcnt 0x0
	s_cmp_eq_u64 s[2:3], 0
	s_cbranch_scc1 .LBB91_29
; %bb.28:
	s_load_b32 s2, s[2:3], 0x0
	s_wait_dscnt 0x0
	s_wait_kmcnt 0x0
	v_div_scale_f32 v1, null, s2, s2, v0
	s_delay_alu instid0(VALU_DEP_1)
	v_rcp_f32_e32 v2, v1
	v_nop
	v_xor_b32_e32 v1, 0x80000000, v1
	s_delay_alu instid0(TRANS32_DEP_1) | instid1(VALU_DEP_1)
	v_fma_f32 v3, v1, v2, 1.0
	s_delay_alu instid0(VALU_DEP_1) | instskip(SKIP_1) | instid1(VALU_DEP_1)
	v_fmac_f32_e32 v2, v3, v2
	v_div_scale_f32 v3, vcc_lo, v0, s2, v0
	v_mul_f32_e32 v4, v3, v2
	s_delay_alu instid0(VALU_DEP_1) | instskip(NEXT) | instid1(VALU_DEP_1)
	v_fma_f32 v5, v1, v4, v3
	v_fmac_f32_e32 v4, v5, v2
	s_delay_alu instid0(VALU_DEP_1) | instskip(NEXT) | instid1(VALU_DEP_1)
	v_fmac_f32_e32 v3, v1, v4
	v_div_fmas_f32 v1, v3, v2, v4
	s_delay_alu instid0(VALU_DEP_1)
	v_div_fixup_f32 v0, v1, s2, v0
.LBB91_29:
	v_mbcnt_lo_u32_b32 v1, exec_lo, 0
	s_delay_alu instid0(VALU_DEP_1)
	v_cmp_eq_u32_e32 vcc_lo, 0, v1
	s_and_b32 exec_lo, exec_lo, vcc_lo
	s_cbranch_execz .LBB91_31
; %bb.30:
	s_load_b64 s[0:1], s[0:1], 0x10
	v_mov_b32_e32 v1, 0
	s_wait_xcnt 0x0
	s_wait_dscnt 0x0
	s_wait_kmcnt 0x0
	global_atomic_max_num_f32 v1, v0, s[0:1] scope:SCOPE_DEV
.LBB91_31:
	s_endpgm
	.section	.rodata,"a",@progbits
	.p2align	6, 0x0
	.amdhsa_kernel _ZN9rocsparseL13kernel_nrminfILj512E21rocsparse_complex_numIfEEEvmPKT0_PNS_15floating_traitsIS3_E6data_tEPKS8_
		.amdhsa_group_segment_fixed_size 2048
		.amdhsa_private_segment_fixed_size 0
		.amdhsa_kernarg_size 32
		.amdhsa_user_sgpr_count 2
		.amdhsa_user_sgpr_dispatch_ptr 0
		.amdhsa_user_sgpr_queue_ptr 0
		.amdhsa_user_sgpr_kernarg_segment_ptr 1
		.amdhsa_user_sgpr_dispatch_id 0
		.amdhsa_user_sgpr_kernarg_preload_length 0
		.amdhsa_user_sgpr_kernarg_preload_offset 0
		.amdhsa_user_sgpr_private_segment_size 0
		.amdhsa_wavefront_size32 1
		.amdhsa_uses_dynamic_stack 0
		.amdhsa_enable_private_segment 0
		.amdhsa_system_sgpr_workgroup_id_x 1
		.amdhsa_system_sgpr_workgroup_id_y 0
		.amdhsa_system_sgpr_workgroup_id_z 0
		.amdhsa_system_sgpr_workgroup_info 0
		.amdhsa_system_vgpr_workitem_id 0
		.amdhsa_next_free_vgpr 8
		.amdhsa_next_free_sgpr 7
		.amdhsa_named_barrier_count 0
		.amdhsa_reserve_vcc 1
		.amdhsa_float_round_mode_32 0
		.amdhsa_float_round_mode_16_64 0
		.amdhsa_float_denorm_mode_32 3
		.amdhsa_float_denorm_mode_16_64 3
		.amdhsa_fp16_overflow 0
		.amdhsa_memory_ordered 1
		.amdhsa_forward_progress 1
		.amdhsa_inst_pref_size 12
		.amdhsa_round_robin_scheduling 0
		.amdhsa_exception_fp_ieee_invalid_op 0
		.amdhsa_exception_fp_denorm_src 0
		.amdhsa_exception_fp_ieee_div_zero 0
		.amdhsa_exception_fp_ieee_overflow 0
		.amdhsa_exception_fp_ieee_underflow 0
		.amdhsa_exception_fp_ieee_inexact 0
		.amdhsa_exception_int_div_zero 0
	.end_amdhsa_kernel
	.section	.text._ZN9rocsparseL13kernel_nrminfILj512E21rocsparse_complex_numIfEEEvmPKT0_PNS_15floating_traitsIS3_E6data_tEPKS8_,"axG",@progbits,_ZN9rocsparseL13kernel_nrminfILj512E21rocsparse_complex_numIfEEEvmPKT0_PNS_15floating_traitsIS3_E6data_tEPKS8_,comdat
.Lfunc_end91:
	.size	_ZN9rocsparseL13kernel_nrminfILj512E21rocsparse_complex_numIfEEEvmPKT0_PNS_15floating_traitsIS3_E6data_tEPKS8_, .Lfunc_end91-_ZN9rocsparseL13kernel_nrminfILj512E21rocsparse_complex_numIfEEEvmPKT0_PNS_15floating_traitsIS3_E6data_tEPKS8_
                                        ; -- End function
	.set _ZN9rocsparseL13kernel_nrminfILj512E21rocsparse_complex_numIfEEEvmPKT0_PNS_15floating_traitsIS3_E6data_tEPKS8_.num_vgpr, 8
	.set _ZN9rocsparseL13kernel_nrminfILj512E21rocsparse_complex_numIfEEEvmPKT0_PNS_15floating_traitsIS3_E6data_tEPKS8_.num_agpr, 0
	.set _ZN9rocsparseL13kernel_nrminfILj512E21rocsparse_complex_numIfEEEvmPKT0_PNS_15floating_traitsIS3_E6data_tEPKS8_.numbered_sgpr, 7
	.set _ZN9rocsparseL13kernel_nrminfILj512E21rocsparse_complex_numIfEEEvmPKT0_PNS_15floating_traitsIS3_E6data_tEPKS8_.num_named_barrier, 0
	.set _ZN9rocsparseL13kernel_nrminfILj512E21rocsparse_complex_numIfEEEvmPKT0_PNS_15floating_traitsIS3_E6data_tEPKS8_.private_seg_size, 0
	.set _ZN9rocsparseL13kernel_nrminfILj512E21rocsparse_complex_numIfEEEvmPKT0_PNS_15floating_traitsIS3_E6data_tEPKS8_.uses_vcc, 1
	.set _ZN9rocsparseL13kernel_nrminfILj512E21rocsparse_complex_numIfEEEvmPKT0_PNS_15floating_traitsIS3_E6data_tEPKS8_.uses_flat_scratch, 0
	.set _ZN9rocsparseL13kernel_nrminfILj512E21rocsparse_complex_numIfEEEvmPKT0_PNS_15floating_traitsIS3_E6data_tEPKS8_.has_dyn_sized_stack, 0
	.set _ZN9rocsparseL13kernel_nrminfILj512E21rocsparse_complex_numIfEEEvmPKT0_PNS_15floating_traitsIS3_E6data_tEPKS8_.has_recursion, 0
	.set _ZN9rocsparseL13kernel_nrminfILj512E21rocsparse_complex_numIfEEEvmPKT0_PNS_15floating_traitsIS3_E6data_tEPKS8_.has_indirect_call, 0
	.section	.AMDGPU.csdata,"",@progbits
; Kernel info:
; codeLenInByte = 1496
; TotalNumSgprs: 9
; NumVgprs: 8
; ScratchSize: 0
; MemoryBound: 0
; FloatMode: 240
; IeeeMode: 1
; LDSByteSize: 2048 bytes/workgroup (compile time only)
; SGPRBlocks: 0
; VGPRBlocks: 0
; NumSGPRsForWavesPerEU: 9
; NumVGPRsForWavesPerEU: 8
; NamedBarCnt: 0
; Occupancy: 16
; WaveLimiterHint : 0
; COMPUTE_PGM_RSRC2:SCRATCH_EN: 0
; COMPUTE_PGM_RSRC2:USER_SGPR: 2
; COMPUTE_PGM_RSRC2:TRAP_HANDLER: 0
; COMPUTE_PGM_RSRC2:TGID_X_EN: 1
; COMPUTE_PGM_RSRC2:TGID_Y_EN: 0
; COMPUTE_PGM_RSRC2:TGID_Z_EN: 0
; COMPUTE_PGM_RSRC2:TIDIG_COMP_CNT: 0
	.section	.text._ZN9rocsparseL18kernel_nrminf_diffILj512E21rocsparse_complex_numIdEEEvmPKT0_S5_PNS_15floating_traitsIS3_E6data_tEPKS8_,"axG",@progbits,_ZN9rocsparseL18kernel_nrminf_diffILj512E21rocsparse_complex_numIdEEEvmPKT0_S5_PNS_15floating_traitsIS3_E6data_tEPKS8_,comdat
	.globl	_ZN9rocsparseL18kernel_nrminf_diffILj512E21rocsparse_complex_numIdEEEvmPKT0_S5_PNS_15floating_traitsIS3_E6data_tEPKS8_ ; -- Begin function _ZN9rocsparseL18kernel_nrminf_diffILj512E21rocsparse_complex_numIdEEEvmPKT0_S5_PNS_15floating_traitsIS3_E6data_tEPKS8_
	.p2align	8
	.type	_ZN9rocsparseL18kernel_nrminf_diffILj512E21rocsparse_complex_numIdEEEvmPKT0_S5_PNS_15floating_traitsIS3_E6data_tEPKS8_,@function
_ZN9rocsparseL18kernel_nrminf_diffILj512E21rocsparse_complex_numIdEEEvmPKT0_S5_PNS_15floating_traitsIS3_E6data_tEPKS8_: ; @_ZN9rocsparseL18kernel_nrminf_diffILj512E21rocsparse_complex_numIdEEEvmPKT0_S5_PNS_15floating_traitsIS3_E6data_tEPKS8_
; %bb.0:
	s_load_b64 s[2:3], s[0:1], 0x0
	s_bfe_u32 s4, ttmp6, 0x4000c
	s_and_b32 s5, ttmp6, 15
	s_add_co_i32 s4, s4, 1
	s_getreg_b32 s6, hwreg(HW_REG_IB_STS2, 6, 4)
	s_mul_i32 s4, ttmp9, s4
	v_mov_b32_e32 v3, 0
	s_add_co_i32 s5, s5, s4
	s_cmp_eq_u32 s6, 0
	v_mov_b64_e32 v[6:7], 0
	s_cselect_b32 s4, ttmp9, s5
	s_delay_alu instid0(SALU_CYCLE_1) | instskip(SKIP_1) | instid1(VALU_DEP_1)
	v_lshl_or_b32 v2, s4, 9, v0
	s_wait_kmcnt 0x0
	v_cmp_gt_u64_e32 vcc_lo, s[2:3], v[2:3]
	s_and_saveexec_b32 s2, vcc_lo
	s_cbranch_execz .LBB92_8
; %bb.1:
	s_load_b128 s[4:7], s[0:1], 0x8
	v_lshlrev_b64_e32 v[2:3], 4, v[2:3]
	s_mov_b32 s3, exec_lo
	s_wait_kmcnt 0x0
	s_delay_alu instid0(VALU_DEP_1)
	v_add_nc_u64_e32 v[10:11], s[6:7], v[2:3]
	v_add_nc_u64_e32 v[12:13], s[4:5], v[2:3]
	global_load_b128 v[2:5], v[10:11], off
	global_load_b128 v[6:9], v[12:13], off
	s_wait_loadcnt 0x0
	v_add_f64_e64 v[8:9], v[8:9], -v[4:5]
	s_delay_alu instid0(VALU_DEP_1) | instskip(SKIP_1) | instid1(VALU_DEP_1)
	v_xor_b32_e32 v4, 0x80000000, v9
	v_add_f64_e64 v[2:3], v[6:7], -v[2:3]
                                        ; implicit-def: $vgpr6_vgpr7
	v_cmp_gt_f64_e32 vcc_lo, 0, v[2:3]
	v_xor_b32_e32 v1, 0x80000000, v3
	s_delay_alu instid0(VALU_DEP_1) | instskip(SKIP_2) | instid1(VALU_DEP_1)
	v_cndmask_b32_e32 v3, v3, v1, vcc_lo
	v_cmp_gt_f64_e32 vcc_lo, 0, v[8:9]
	v_dual_cndmask_b32 v5, v9, v4 :: v_dual_mov_b32 v4, v8
	v_cmpx_ngt_f64_e32 v[2:3], v[4:5]
	s_xor_b32 s3, exec_lo, s3
	s_cbranch_execz .LBB92_5
; %bb.2:
	v_mov_b64_e32 v[6:7], 0
	s_mov_b32 s4, exec_lo
	v_cmpx_neq_f64_e32 0, v[8:9]
	s_cbranch_execz .LBB92_4
; %bb.3:
	v_div_scale_f64 v[6:7], null, v[4:5], v[4:5], v[2:3]
	v_div_scale_f64 v[12:13], vcc_lo, v[2:3], v[4:5], v[2:3]
	s_delay_alu instid0(VALU_DEP_2) | instskip(SKIP_1) | instid1(TRANS32_DEP_1)
	v_rcp_f64_e32 v[8:9], v[6:7]
	v_nop
	v_fma_f64 v[10:11], -v[6:7], v[8:9], 1.0
	s_delay_alu instid0(VALU_DEP_1) | instskip(NEXT) | instid1(VALU_DEP_1)
	v_fmac_f64_e32 v[8:9], v[8:9], v[10:11]
	v_fma_f64 v[10:11], -v[6:7], v[8:9], 1.0
	s_delay_alu instid0(VALU_DEP_1) | instskip(NEXT) | instid1(VALU_DEP_1)
	v_fmac_f64_e32 v[8:9], v[8:9], v[10:11]
	v_mul_f64_e32 v[10:11], v[12:13], v[8:9]
	s_delay_alu instid0(VALU_DEP_1) | instskip(NEXT) | instid1(VALU_DEP_1)
	v_fma_f64 v[6:7], -v[6:7], v[10:11], v[12:13]
	v_div_fmas_f64 v[6:7], v[6:7], v[8:9], v[10:11]
	s_delay_alu instid0(VALU_DEP_1) | instskip(NEXT) | instid1(VALU_DEP_1)
	v_div_fixup_f64 v[2:3], v[6:7], v[4:5], v[2:3]
	v_fma_f64 v[2:3], v[2:3], v[2:3], 1.0
	s_delay_alu instid0(VALU_DEP_1) | instskip(SKIP_1) | instid1(VALU_DEP_1)
	v_cmp_gt_f64_e32 vcc_lo, 0x10000000, v[2:3]
	v_cndmask_b32_e64 v1, 0, 0x100, vcc_lo
	v_ldexp_f64 v[2:3], v[2:3], v1
	v_cndmask_b32_e64 v1, 0, 0xffffff80, vcc_lo
	s_delay_alu instid0(VALU_DEP_2) | instskip(SKIP_1) | instid1(TRANS32_DEP_1)
	v_rsq_f64_e32 v[6:7], v[2:3]
	v_cmp_class_f64_e64 vcc_lo, v[2:3], 0x260
	v_mul_f64_e32 v[8:9], v[2:3], v[6:7]
	v_mul_f64_e32 v[6:7], 0.5, v[6:7]
	s_delay_alu instid0(VALU_DEP_1) | instskip(NEXT) | instid1(VALU_DEP_1)
	v_fma_f64 v[10:11], -v[6:7], v[8:9], 0.5
	v_fmac_f64_e32 v[8:9], v[8:9], v[10:11]
	v_fmac_f64_e32 v[6:7], v[6:7], v[10:11]
	s_delay_alu instid0(VALU_DEP_2) | instskip(NEXT) | instid1(VALU_DEP_1)
	v_fma_f64 v[10:11], -v[8:9], v[8:9], v[2:3]
	v_fmac_f64_e32 v[8:9], v[10:11], v[6:7]
	s_delay_alu instid0(VALU_DEP_1) | instskip(NEXT) | instid1(VALU_DEP_1)
	v_fma_f64 v[10:11], -v[8:9], v[8:9], v[2:3]
	v_fmac_f64_e32 v[8:9], v[10:11], v[6:7]
	s_delay_alu instid0(VALU_DEP_1) | instskip(NEXT) | instid1(VALU_DEP_1)
	v_ldexp_f64 v[6:7], v[8:9], v1
	v_dual_cndmask_b32 v3, v7, v3 :: v_dual_cndmask_b32 v2, v6, v2
	s_delay_alu instid0(VALU_DEP_1)
	v_mul_f64_e32 v[6:7], v[4:5], v[2:3]
.LBB92_4:
	s_or_b32 exec_lo, exec_lo, s4
                                        ; implicit-def: $vgpr2_vgpr3
                                        ; implicit-def: $vgpr4_vgpr5
.LBB92_5:
	s_and_not1_saveexec_b32 s3, s3
	s_cbranch_execz .LBB92_7
; %bb.6:
	v_div_scale_f64 v[6:7], null, v[2:3], v[2:3], v[4:5]
	v_div_scale_f64 v[12:13], vcc_lo, v[4:5], v[2:3], v[4:5]
	s_delay_alu instid0(VALU_DEP_2) | instskip(SKIP_1) | instid1(TRANS32_DEP_1)
	v_rcp_f64_e32 v[8:9], v[6:7]
	v_nop
	v_fma_f64 v[10:11], -v[6:7], v[8:9], 1.0
	s_delay_alu instid0(VALU_DEP_1) | instskip(NEXT) | instid1(VALU_DEP_1)
	v_fmac_f64_e32 v[8:9], v[8:9], v[10:11]
	v_fma_f64 v[10:11], -v[6:7], v[8:9], 1.0
	s_delay_alu instid0(VALU_DEP_1) | instskip(NEXT) | instid1(VALU_DEP_1)
	v_fmac_f64_e32 v[8:9], v[8:9], v[10:11]
	v_mul_f64_e32 v[10:11], v[12:13], v[8:9]
	s_delay_alu instid0(VALU_DEP_1) | instskip(NEXT) | instid1(VALU_DEP_1)
	v_fma_f64 v[6:7], -v[6:7], v[10:11], v[12:13]
	v_div_fmas_f64 v[6:7], v[6:7], v[8:9], v[10:11]
	s_delay_alu instid0(VALU_DEP_1) | instskip(NEXT) | instid1(VALU_DEP_1)
	v_div_fixup_f64 v[4:5], v[6:7], v[2:3], v[4:5]
	v_fma_f64 v[4:5], v[4:5], v[4:5], 1.0
	s_delay_alu instid0(VALU_DEP_1) | instskip(SKIP_1) | instid1(VALU_DEP_1)
	v_cmp_gt_f64_e32 vcc_lo, 0x10000000, v[4:5]
	v_cndmask_b32_e64 v1, 0, 0x100, vcc_lo
	v_ldexp_f64 v[4:5], v[4:5], v1
	v_cndmask_b32_e64 v1, 0, 0xffffff80, vcc_lo
	s_delay_alu instid0(VALU_DEP_2) | instskip(SKIP_1) | instid1(TRANS32_DEP_1)
	v_rsq_f64_e32 v[6:7], v[4:5]
	v_cmp_class_f64_e64 vcc_lo, v[4:5], 0x260
	v_mul_f64_e32 v[8:9], v[4:5], v[6:7]
	v_mul_f64_e32 v[6:7], 0.5, v[6:7]
	s_delay_alu instid0(VALU_DEP_1) | instskip(NEXT) | instid1(VALU_DEP_1)
	v_fma_f64 v[10:11], -v[6:7], v[8:9], 0.5
	v_fmac_f64_e32 v[8:9], v[8:9], v[10:11]
	v_fmac_f64_e32 v[6:7], v[6:7], v[10:11]
	s_delay_alu instid0(VALU_DEP_2) | instskip(NEXT) | instid1(VALU_DEP_1)
	v_fma_f64 v[10:11], -v[8:9], v[8:9], v[4:5]
	v_fmac_f64_e32 v[8:9], v[10:11], v[6:7]
	s_delay_alu instid0(VALU_DEP_1) | instskip(NEXT) | instid1(VALU_DEP_1)
	v_fma_f64 v[10:11], -v[8:9], v[8:9], v[4:5]
	v_fmac_f64_e32 v[8:9], v[10:11], v[6:7]
	s_delay_alu instid0(VALU_DEP_1) | instskip(NEXT) | instid1(VALU_DEP_1)
	v_ldexp_f64 v[6:7], v[8:9], v1
	v_dual_cndmask_b32 v5, v7, v5 :: v_dual_cndmask_b32 v4, v6, v4
	s_delay_alu instid0(VALU_DEP_1)
	v_mul_f64_e32 v[6:7], v[2:3], v[4:5]
.LBB92_7:
	s_or_b32 exec_lo, exec_lo, s3
.LBB92_8:
	s_delay_alu instid0(SALU_CYCLE_1)
	s_or_b32 exec_lo, exec_lo, s2
	v_lshlrev_b32_e32 v1, 3, v0
	s_mov_b32 s2, exec_lo
	ds_store_b64 v1, v[6:7]
	s_wait_dscnt 0x0
	s_barrier_signal -1
	s_barrier_wait -1
	v_cmpx_gt_u32_e32 0x100, v0
	s_cbranch_execz .LBB92_10
; %bb.9:
	ds_load_2addr_stride64_b64 v[2:5], v1 offset1:4
	s_wait_dscnt 0x0
	v_cmp_lt_f64_e32 vcc_lo, v[2:3], v[4:5]
	v_dual_cndmask_b32 v3, v3, v5 :: v_dual_cndmask_b32 v2, v2, v4
	ds_store_b64 v1, v[2:3]
.LBB92_10:
	s_or_b32 exec_lo, exec_lo, s2
	s_delay_alu instid0(SALU_CYCLE_1)
	s_mov_b32 s2, exec_lo
	s_wait_dscnt 0x0
	s_barrier_signal -1
	s_barrier_wait -1
	v_cmpx_gt_u32_e32 0x80, v0
	s_cbranch_execz .LBB92_12
; %bb.11:
	ds_load_2addr_stride64_b64 v[2:5], v1 offset1:2
	s_wait_dscnt 0x0
	v_cmp_lt_f64_e32 vcc_lo, v[2:3], v[4:5]
	v_dual_cndmask_b32 v3, v3, v5 :: v_dual_cndmask_b32 v2, v2, v4
	ds_store_b64 v1, v[2:3]
.LBB92_12:
	s_or_b32 exec_lo, exec_lo, s2
	s_delay_alu instid0(SALU_CYCLE_1)
	s_mov_b32 s2, exec_lo
	;; [unrolled: 15-line block ×3, first 2 shown]
	s_wait_dscnt 0x0
	s_barrier_signal -1
	s_barrier_wait -1
	v_cmpx_gt_u32_e32 32, v0
	s_cbranch_execz .LBB92_16
; %bb.15:
	ds_load_2addr_b64 v[2:5], v1 offset1:32
	s_wait_dscnt 0x0
	v_cmp_lt_f64_e32 vcc_lo, v[2:3], v[4:5]
	v_dual_cndmask_b32 v3, v3, v5 :: v_dual_cndmask_b32 v2, v2, v4
	ds_store_b64 v1, v[2:3]
.LBB92_16:
	s_or_b32 exec_lo, exec_lo, s2
	s_delay_alu instid0(SALU_CYCLE_1)
	s_mov_b32 s2, exec_lo
	s_wait_dscnt 0x0
	s_barrier_signal -1
	s_barrier_wait -1
	v_cmpx_gt_u32_e32 16, v0
	s_cbranch_execz .LBB92_18
; %bb.17:
	ds_load_2addr_b64 v[2:5], v1 offset1:16
	s_wait_dscnt 0x0
	v_cmp_lt_f64_e32 vcc_lo, v[2:3], v[4:5]
	v_dual_cndmask_b32 v3, v3, v5 :: v_dual_cndmask_b32 v2, v2, v4
	ds_store_b64 v1, v[2:3]
.LBB92_18:
	s_or_b32 exec_lo, exec_lo, s2
	s_delay_alu instid0(SALU_CYCLE_1)
	s_mov_b32 s2, exec_lo
	;; [unrolled: 15-line block ×4, first 2 shown]
	s_wait_dscnt 0x0
	s_barrier_signal -1
	s_barrier_wait -1
	v_cmpx_gt_u32_e32 2, v0
	s_cbranch_execz .LBB92_24
; %bb.23:
	ds_load_2addr_b64 v[2:5], v1 offset1:2
	s_wait_dscnt 0x0
	v_cmp_lt_f64_e32 vcc_lo, v[2:3], v[4:5]
	v_dual_cndmask_b32 v3, v3, v5 :: v_dual_cndmask_b32 v2, v2, v4
	ds_store_b64 v1, v[2:3]
.LBB92_24:
	s_or_b32 exec_lo, exec_lo, s2
	v_cmp_eq_u32_e32 vcc_lo, 0, v0
	s_wait_dscnt 0x0
	s_barrier_signal -1
	s_barrier_wait -1
	s_and_saveexec_b32 s3, vcc_lo
	s_cbranch_execz .LBB92_26
; %bb.25:
	v_mov_b32_e32 v4, 0
	ds_load_b128 v[0:3], v4
	s_wait_dscnt 0x0
	v_cmp_lt_f64_e64 s2, v[0:1], v[2:3]
	s_delay_alu instid0(VALU_DEP_1)
	v_dual_cndmask_b32 v1, v1, v3, s2 :: v_dual_cndmask_b32 v0, v0, v2, s2
	ds_store_b64 v4, v[0:1]
.LBB92_26:
	s_or_b32 exec_lo, exec_lo, s3
	s_wait_dscnt 0x0
	s_barrier_signal -1
	s_barrier_wait -1
	s_and_saveexec_b32 s2, vcc_lo
	s_cbranch_execz .LBB92_31
; %bb.27:
	v_mov_b32_e32 v0, 0
	s_load_b64 s[2:3], s[0:1], 0x20
	ds_load_b64 v[0:1], v0
	s_wait_kmcnt 0x0
	s_cmp_eq_u64 s[2:3], 0
	s_cbranch_scc1 .LBB92_29
; %bb.28:
	s_load_b64 s[2:3], s[2:3], 0x0
	s_wait_dscnt 0x0
	s_wait_kmcnt 0x0
	v_div_scale_f64 v[2:3], null, s[2:3], s[2:3], v[0:1]
	s_delay_alu instid0(VALU_DEP_1) | instskip(SKIP_1) | instid1(TRANS32_DEP_1)
	v_rcp_f64_e32 v[4:5], v[2:3]
	v_nop
	v_fma_f64 v[6:7], -v[2:3], v[4:5], 1.0
	s_delay_alu instid0(VALU_DEP_1) | instskip(NEXT) | instid1(VALU_DEP_1)
	v_fmac_f64_e32 v[4:5], v[4:5], v[6:7]
	v_fma_f64 v[6:7], -v[2:3], v[4:5], 1.0
	s_delay_alu instid0(VALU_DEP_1) | instskip(SKIP_1) | instid1(VALU_DEP_1)
	v_fmac_f64_e32 v[4:5], v[4:5], v[6:7]
	v_div_scale_f64 v[6:7], vcc_lo, v[0:1], s[2:3], v[0:1]
	v_mul_f64_e32 v[8:9], v[6:7], v[4:5]
	s_delay_alu instid0(VALU_DEP_1) | instskip(NEXT) | instid1(VALU_DEP_1)
	v_fma_f64 v[2:3], -v[2:3], v[8:9], v[6:7]
	v_div_fmas_f64 v[2:3], v[2:3], v[4:5], v[8:9]
	s_delay_alu instid0(VALU_DEP_1)
	v_div_fixup_f64 v[0:1], v[2:3], s[2:3], v[0:1]
.LBB92_29:
	v_mbcnt_lo_u32_b32 v2, exec_lo, 0
	s_delay_alu instid0(VALU_DEP_1)
	v_cmp_eq_u32_e32 vcc_lo, 0, v2
	s_and_b32 exec_lo, exec_lo, vcc_lo
	s_cbranch_execz .LBB92_31
; %bb.30:
	s_load_b64 s[0:1], s[0:1], 0x18
	v_mov_b32_e32 v2, 0
	s_wait_xcnt 0x0
	s_wait_dscnt 0x0
	s_wait_kmcnt 0x0
	global_atomic_max_num_f64 v2, v[0:1], s[0:1] scope:SCOPE_DEV
.LBB92_31:
	s_endpgm
	.section	.rodata,"a",@progbits
	.p2align	6, 0x0
	.amdhsa_kernel _ZN9rocsparseL18kernel_nrminf_diffILj512E21rocsparse_complex_numIdEEEvmPKT0_S5_PNS_15floating_traitsIS3_E6data_tEPKS8_
		.amdhsa_group_segment_fixed_size 4096
		.amdhsa_private_segment_fixed_size 0
		.amdhsa_kernarg_size 40
		.amdhsa_user_sgpr_count 2
		.amdhsa_user_sgpr_dispatch_ptr 0
		.amdhsa_user_sgpr_queue_ptr 0
		.amdhsa_user_sgpr_kernarg_segment_ptr 1
		.amdhsa_user_sgpr_dispatch_id 0
		.amdhsa_user_sgpr_kernarg_preload_length 0
		.amdhsa_user_sgpr_kernarg_preload_offset 0
		.amdhsa_user_sgpr_private_segment_size 0
		.amdhsa_wavefront_size32 1
		.amdhsa_uses_dynamic_stack 0
		.amdhsa_enable_private_segment 0
		.amdhsa_system_sgpr_workgroup_id_x 1
		.amdhsa_system_sgpr_workgroup_id_y 0
		.amdhsa_system_sgpr_workgroup_id_z 0
		.amdhsa_system_sgpr_workgroup_info 0
		.amdhsa_system_vgpr_workitem_id 0
		.amdhsa_next_free_vgpr 14
		.amdhsa_next_free_sgpr 8
		.amdhsa_named_barrier_count 0
		.amdhsa_reserve_vcc 1
		.amdhsa_float_round_mode_32 0
		.amdhsa_float_round_mode_16_64 0
		.amdhsa_float_denorm_mode_32 3
		.amdhsa_float_denorm_mode_16_64 3
		.amdhsa_fp16_overflow 0
		.amdhsa_memory_ordered 1
		.amdhsa_forward_progress 1
		.amdhsa_inst_pref_size 13
		.amdhsa_round_robin_scheduling 0
		.amdhsa_exception_fp_ieee_invalid_op 0
		.amdhsa_exception_fp_denorm_src 0
		.amdhsa_exception_fp_ieee_div_zero 0
		.amdhsa_exception_fp_ieee_overflow 0
		.amdhsa_exception_fp_ieee_underflow 0
		.amdhsa_exception_fp_ieee_inexact 0
		.amdhsa_exception_int_div_zero 0
	.end_amdhsa_kernel
	.section	.text._ZN9rocsparseL18kernel_nrminf_diffILj512E21rocsparse_complex_numIdEEEvmPKT0_S5_PNS_15floating_traitsIS3_E6data_tEPKS8_,"axG",@progbits,_ZN9rocsparseL18kernel_nrminf_diffILj512E21rocsparse_complex_numIdEEEvmPKT0_S5_PNS_15floating_traitsIS3_E6data_tEPKS8_,comdat
.Lfunc_end92:
	.size	_ZN9rocsparseL18kernel_nrminf_diffILj512E21rocsparse_complex_numIdEEEvmPKT0_S5_PNS_15floating_traitsIS3_E6data_tEPKS8_, .Lfunc_end92-_ZN9rocsparseL18kernel_nrminf_diffILj512E21rocsparse_complex_numIdEEEvmPKT0_S5_PNS_15floating_traitsIS3_E6data_tEPKS8_
                                        ; -- End function
	.set _ZN9rocsparseL18kernel_nrminf_diffILj512E21rocsparse_complex_numIdEEEvmPKT0_S5_PNS_15floating_traitsIS3_E6data_tEPKS8_.num_vgpr, 14
	.set _ZN9rocsparseL18kernel_nrminf_diffILj512E21rocsparse_complex_numIdEEEvmPKT0_S5_PNS_15floating_traitsIS3_E6data_tEPKS8_.num_agpr, 0
	.set _ZN9rocsparseL18kernel_nrminf_diffILj512E21rocsparse_complex_numIdEEEvmPKT0_S5_PNS_15floating_traitsIS3_E6data_tEPKS8_.numbered_sgpr, 8
	.set _ZN9rocsparseL18kernel_nrminf_diffILj512E21rocsparse_complex_numIdEEEvmPKT0_S5_PNS_15floating_traitsIS3_E6data_tEPKS8_.num_named_barrier, 0
	.set _ZN9rocsparseL18kernel_nrminf_diffILj512E21rocsparse_complex_numIdEEEvmPKT0_S5_PNS_15floating_traitsIS3_E6data_tEPKS8_.private_seg_size, 0
	.set _ZN9rocsparseL18kernel_nrminf_diffILj512E21rocsparse_complex_numIdEEEvmPKT0_S5_PNS_15floating_traitsIS3_E6data_tEPKS8_.uses_vcc, 1
	.set _ZN9rocsparseL18kernel_nrminf_diffILj512E21rocsparse_complex_numIdEEEvmPKT0_S5_PNS_15floating_traitsIS3_E6data_tEPKS8_.uses_flat_scratch, 0
	.set _ZN9rocsparseL18kernel_nrminf_diffILj512E21rocsparse_complex_numIdEEEvmPKT0_S5_PNS_15floating_traitsIS3_E6data_tEPKS8_.has_dyn_sized_stack, 0
	.set _ZN9rocsparseL18kernel_nrminf_diffILj512E21rocsparse_complex_numIdEEEvmPKT0_S5_PNS_15floating_traitsIS3_E6data_tEPKS8_.has_recursion, 0
	.set _ZN9rocsparseL18kernel_nrminf_diffILj512E21rocsparse_complex_numIdEEEvmPKT0_S5_PNS_15floating_traitsIS3_E6data_tEPKS8_.has_indirect_call, 0
	.section	.AMDGPU.csdata,"",@progbits
; Kernel info:
; codeLenInByte = 1596
; TotalNumSgprs: 10
; NumVgprs: 14
; ScratchSize: 0
; MemoryBound: 1
; FloatMode: 240
; IeeeMode: 1
; LDSByteSize: 4096 bytes/workgroup (compile time only)
; SGPRBlocks: 0
; VGPRBlocks: 0
; NumSGPRsForWavesPerEU: 10
; NumVGPRsForWavesPerEU: 14
; NamedBarCnt: 0
; Occupancy: 16
; WaveLimiterHint : 0
; COMPUTE_PGM_RSRC2:SCRATCH_EN: 0
; COMPUTE_PGM_RSRC2:USER_SGPR: 2
; COMPUTE_PGM_RSRC2:TRAP_HANDLER: 0
; COMPUTE_PGM_RSRC2:TGID_X_EN: 1
; COMPUTE_PGM_RSRC2:TGID_Y_EN: 0
; COMPUTE_PGM_RSRC2:TGID_Z_EN: 0
; COMPUTE_PGM_RSRC2:TIDIG_COMP_CNT: 0
	.section	.text._ZN9rocsparseL13kernel_nrminfILj512E21rocsparse_complex_numIdEEEvmPKT0_PNS_15floating_traitsIS3_E6data_tEPKS8_,"axG",@progbits,_ZN9rocsparseL13kernel_nrminfILj512E21rocsparse_complex_numIdEEEvmPKT0_PNS_15floating_traitsIS3_E6data_tEPKS8_,comdat
	.globl	_ZN9rocsparseL13kernel_nrminfILj512E21rocsparse_complex_numIdEEEvmPKT0_PNS_15floating_traitsIS3_E6data_tEPKS8_ ; -- Begin function _ZN9rocsparseL13kernel_nrminfILj512E21rocsparse_complex_numIdEEEvmPKT0_PNS_15floating_traitsIS3_E6data_tEPKS8_
	.p2align	8
	.type	_ZN9rocsparseL13kernel_nrminfILj512E21rocsparse_complex_numIdEEEvmPKT0_PNS_15floating_traitsIS3_E6data_tEPKS8_,@function
_ZN9rocsparseL13kernel_nrminfILj512E21rocsparse_complex_numIdEEEvmPKT0_PNS_15floating_traitsIS3_E6data_tEPKS8_: ; @_ZN9rocsparseL13kernel_nrminfILj512E21rocsparse_complex_numIdEEEvmPKT0_PNS_15floating_traitsIS3_E6data_tEPKS8_
; %bb.0:
	s_load_b64 s[2:3], s[0:1], 0x0
	s_bfe_u32 s4, ttmp6, 0x4000c
	s_and_b32 s5, ttmp6, 15
	s_add_co_i32 s4, s4, 1
	s_getreg_b32 s6, hwreg(HW_REG_IB_STS2, 6, 4)
	s_mul_i32 s4, ttmp9, s4
	v_mov_b32_e32 v3, 0
	s_add_co_i32 s5, s5, s4
	s_cmp_eq_u32 s6, 0
	v_mov_b64_e32 v[8:9], 0
	s_cselect_b32 s4, ttmp9, s5
	s_delay_alu instid0(SALU_CYCLE_1) | instskip(SKIP_1) | instid1(VALU_DEP_1)
	v_lshl_or_b32 v2, s4, 9, v0
	s_wait_kmcnt 0x0
	v_cmp_gt_u64_e32 vcc_lo, s[2:3], v[2:3]
	s_and_saveexec_b32 s2, vcc_lo
	s_cbranch_execz .LBB93_8
; %bb.1:
	s_load_b64 s[4:5], s[0:1], 0x8
	s_mov_b32 s3, exec_lo
                                        ; implicit-def: $vgpr8_vgpr9
	s_wait_kmcnt 0x0
	v_lshl_add_u64 v[2:3], v[2:3], 4, s[4:5]
	global_load_b128 v[2:5], v[2:3], off
	s_wait_loadcnt 0x0
	v_cmp_gt_f64_e32 vcc_lo, 0, v[2:3]
	v_xor_b32_e32 v1, 0x80000000, v3
	v_xor_b32_e32 v6, 0x80000000, v5
	s_delay_alu instid0(VALU_DEP_2) | instskip(SKIP_1) | instid1(VALU_DEP_3)
	v_cndmask_b32_e32 v3, v3, v1, vcc_lo
	v_cmp_gt_f64_e32 vcc_lo, 0, v[4:5]
	v_dual_cndmask_b32 v7, v5, v6 :: v_dual_mov_b32 v6, v4
	s_delay_alu instid0(VALU_DEP_1)
	v_cmpx_ngt_f64_e32 v[2:3], v[6:7]
	s_xor_b32 s3, exec_lo, s3
	s_cbranch_execz .LBB93_5
; %bb.2:
	v_mov_b64_e32 v[8:9], 0
	s_mov_b32 s4, exec_lo
	v_cmpx_neq_f64_e32 0, v[4:5]
	s_cbranch_execz .LBB93_4
; %bb.3:
	v_div_scale_f64 v[4:5], null, v[6:7], v[6:7], v[2:3]
	v_div_scale_f64 v[12:13], vcc_lo, v[2:3], v[6:7], v[2:3]
	s_delay_alu instid0(VALU_DEP_2) | instskip(SKIP_1) | instid1(TRANS32_DEP_1)
	v_rcp_f64_e32 v[8:9], v[4:5]
	v_nop
	v_fma_f64 v[10:11], -v[4:5], v[8:9], 1.0
	s_delay_alu instid0(VALU_DEP_1) | instskip(NEXT) | instid1(VALU_DEP_1)
	v_fmac_f64_e32 v[8:9], v[8:9], v[10:11]
	v_fma_f64 v[10:11], -v[4:5], v[8:9], 1.0
	s_delay_alu instid0(VALU_DEP_1) | instskip(NEXT) | instid1(VALU_DEP_1)
	v_fmac_f64_e32 v[8:9], v[8:9], v[10:11]
	v_mul_f64_e32 v[10:11], v[12:13], v[8:9]
	s_delay_alu instid0(VALU_DEP_1) | instskip(NEXT) | instid1(VALU_DEP_1)
	v_fma_f64 v[4:5], -v[4:5], v[10:11], v[12:13]
	v_div_fmas_f64 v[4:5], v[4:5], v[8:9], v[10:11]
	s_delay_alu instid0(VALU_DEP_1) | instskip(NEXT) | instid1(VALU_DEP_1)
	v_div_fixup_f64 v[2:3], v[4:5], v[6:7], v[2:3]
	v_fma_f64 v[2:3], v[2:3], v[2:3], 1.0
	s_delay_alu instid0(VALU_DEP_1) | instskip(SKIP_1) | instid1(VALU_DEP_1)
	v_cmp_gt_f64_e32 vcc_lo, 0x10000000, v[2:3]
	v_cndmask_b32_e64 v1, 0, 0x100, vcc_lo
	v_ldexp_f64 v[2:3], v[2:3], v1
	v_cndmask_b32_e64 v1, 0, 0xffffff80, vcc_lo
	s_delay_alu instid0(VALU_DEP_2) | instskip(SKIP_1) | instid1(TRANS32_DEP_1)
	v_rsq_f64_e32 v[4:5], v[2:3]
	v_cmp_class_f64_e64 vcc_lo, v[2:3], 0x260
	v_mul_f64_e32 v[8:9], v[2:3], v[4:5]
	v_mul_f64_e32 v[4:5], 0.5, v[4:5]
	s_delay_alu instid0(VALU_DEP_1) | instskip(NEXT) | instid1(VALU_DEP_1)
	v_fma_f64 v[10:11], -v[4:5], v[8:9], 0.5
	v_fmac_f64_e32 v[8:9], v[8:9], v[10:11]
	v_fmac_f64_e32 v[4:5], v[4:5], v[10:11]
	s_delay_alu instid0(VALU_DEP_2) | instskip(NEXT) | instid1(VALU_DEP_1)
	v_fma_f64 v[10:11], -v[8:9], v[8:9], v[2:3]
	v_fmac_f64_e32 v[8:9], v[10:11], v[4:5]
	s_delay_alu instid0(VALU_DEP_1) | instskip(NEXT) | instid1(VALU_DEP_1)
	v_fma_f64 v[10:11], -v[8:9], v[8:9], v[2:3]
	v_fmac_f64_e32 v[8:9], v[10:11], v[4:5]
	s_delay_alu instid0(VALU_DEP_1) | instskip(NEXT) | instid1(VALU_DEP_1)
	v_ldexp_f64 v[4:5], v[8:9], v1
	v_dual_cndmask_b32 v3, v5, v3 :: v_dual_cndmask_b32 v2, v4, v2
	s_delay_alu instid0(VALU_DEP_1)
	v_mul_f64_e32 v[8:9], v[6:7], v[2:3]
.LBB93_4:
	s_or_b32 exec_lo, exec_lo, s4
                                        ; implicit-def: $vgpr2_vgpr3
                                        ; implicit-def: $vgpr6_vgpr7
.LBB93_5:
	s_and_not1_saveexec_b32 s3, s3
	s_cbranch_execz .LBB93_7
; %bb.6:
	v_div_scale_f64 v[4:5], null, v[2:3], v[2:3], v[6:7]
	v_div_scale_f64 v[12:13], vcc_lo, v[6:7], v[2:3], v[6:7]
	s_delay_alu instid0(VALU_DEP_2) | instskip(SKIP_1) | instid1(TRANS32_DEP_1)
	v_rcp_f64_e32 v[8:9], v[4:5]
	v_nop
	v_fma_f64 v[10:11], -v[4:5], v[8:9], 1.0
	s_delay_alu instid0(VALU_DEP_1) | instskip(NEXT) | instid1(VALU_DEP_1)
	v_fmac_f64_e32 v[8:9], v[8:9], v[10:11]
	v_fma_f64 v[10:11], -v[4:5], v[8:9], 1.0
	s_delay_alu instid0(VALU_DEP_1) | instskip(NEXT) | instid1(VALU_DEP_1)
	v_fmac_f64_e32 v[8:9], v[8:9], v[10:11]
	v_mul_f64_e32 v[10:11], v[12:13], v[8:9]
	s_delay_alu instid0(VALU_DEP_1) | instskip(NEXT) | instid1(VALU_DEP_1)
	v_fma_f64 v[4:5], -v[4:5], v[10:11], v[12:13]
	v_div_fmas_f64 v[4:5], v[4:5], v[8:9], v[10:11]
	s_delay_alu instid0(VALU_DEP_1) | instskip(NEXT) | instid1(VALU_DEP_1)
	v_div_fixup_f64 v[4:5], v[4:5], v[2:3], v[6:7]
	v_fma_f64 v[4:5], v[4:5], v[4:5], 1.0
	s_delay_alu instid0(VALU_DEP_1) | instskip(SKIP_1) | instid1(VALU_DEP_1)
	v_cmp_gt_f64_e32 vcc_lo, 0x10000000, v[4:5]
	v_cndmask_b32_e64 v1, 0, 0x100, vcc_lo
	v_ldexp_f64 v[4:5], v[4:5], v1
	v_cndmask_b32_e64 v1, 0, 0xffffff80, vcc_lo
	s_delay_alu instid0(VALU_DEP_2) | instskip(SKIP_1) | instid1(TRANS32_DEP_1)
	v_rsq_f64_e32 v[6:7], v[4:5]
	v_cmp_class_f64_e64 vcc_lo, v[4:5], 0x260
	v_mul_f64_e32 v[8:9], v[4:5], v[6:7]
	v_mul_f64_e32 v[6:7], 0.5, v[6:7]
	s_delay_alu instid0(VALU_DEP_1) | instskip(NEXT) | instid1(VALU_DEP_1)
	v_fma_f64 v[10:11], -v[6:7], v[8:9], 0.5
	v_fmac_f64_e32 v[8:9], v[8:9], v[10:11]
	v_fmac_f64_e32 v[6:7], v[6:7], v[10:11]
	s_delay_alu instid0(VALU_DEP_2) | instskip(NEXT) | instid1(VALU_DEP_1)
	v_fma_f64 v[10:11], -v[8:9], v[8:9], v[4:5]
	v_fmac_f64_e32 v[8:9], v[10:11], v[6:7]
	s_delay_alu instid0(VALU_DEP_1) | instskip(NEXT) | instid1(VALU_DEP_1)
	v_fma_f64 v[10:11], -v[8:9], v[8:9], v[4:5]
	v_fmac_f64_e32 v[8:9], v[10:11], v[6:7]
	s_delay_alu instid0(VALU_DEP_1) | instskip(NEXT) | instid1(VALU_DEP_1)
	v_ldexp_f64 v[6:7], v[8:9], v1
	v_dual_cndmask_b32 v5, v7, v5 :: v_dual_cndmask_b32 v4, v6, v4
	s_delay_alu instid0(VALU_DEP_1)
	v_mul_f64_e32 v[8:9], v[2:3], v[4:5]
.LBB93_7:
	s_or_b32 exec_lo, exec_lo, s3
.LBB93_8:
	s_delay_alu instid0(SALU_CYCLE_1)
	s_or_b32 exec_lo, exec_lo, s2
	v_lshlrev_b32_e32 v1, 3, v0
	s_mov_b32 s2, exec_lo
	ds_store_b64 v1, v[8:9]
	s_wait_dscnt 0x0
	s_barrier_signal -1
	s_barrier_wait -1
	v_cmpx_gt_u32_e32 0x100, v0
	s_cbranch_execz .LBB93_10
; %bb.9:
	ds_load_2addr_stride64_b64 v[2:5], v1 offset1:4
	s_wait_dscnt 0x0
	v_cmp_lt_f64_e32 vcc_lo, v[2:3], v[4:5]
	v_dual_cndmask_b32 v3, v3, v5 :: v_dual_cndmask_b32 v2, v2, v4
	ds_store_b64 v1, v[2:3]
.LBB93_10:
	s_or_b32 exec_lo, exec_lo, s2
	s_delay_alu instid0(SALU_CYCLE_1)
	s_mov_b32 s2, exec_lo
	s_wait_dscnt 0x0
	s_barrier_signal -1
	s_barrier_wait -1
	v_cmpx_gt_u32_e32 0x80, v0
	s_cbranch_execz .LBB93_12
; %bb.11:
	ds_load_2addr_stride64_b64 v[2:5], v1 offset1:2
	s_wait_dscnt 0x0
	v_cmp_lt_f64_e32 vcc_lo, v[2:3], v[4:5]
	v_dual_cndmask_b32 v3, v3, v5 :: v_dual_cndmask_b32 v2, v2, v4
	ds_store_b64 v1, v[2:3]
.LBB93_12:
	s_or_b32 exec_lo, exec_lo, s2
	s_delay_alu instid0(SALU_CYCLE_1)
	s_mov_b32 s2, exec_lo
	;; [unrolled: 15-line block ×3, first 2 shown]
	s_wait_dscnt 0x0
	s_barrier_signal -1
	s_barrier_wait -1
	v_cmpx_gt_u32_e32 32, v0
	s_cbranch_execz .LBB93_16
; %bb.15:
	ds_load_2addr_b64 v[2:5], v1 offset1:32
	s_wait_dscnt 0x0
	v_cmp_lt_f64_e32 vcc_lo, v[2:3], v[4:5]
	v_dual_cndmask_b32 v3, v3, v5 :: v_dual_cndmask_b32 v2, v2, v4
	ds_store_b64 v1, v[2:3]
.LBB93_16:
	s_or_b32 exec_lo, exec_lo, s2
	s_delay_alu instid0(SALU_CYCLE_1)
	s_mov_b32 s2, exec_lo
	s_wait_dscnt 0x0
	s_barrier_signal -1
	s_barrier_wait -1
	v_cmpx_gt_u32_e32 16, v0
	s_cbranch_execz .LBB93_18
; %bb.17:
	ds_load_2addr_b64 v[2:5], v1 offset1:16
	s_wait_dscnt 0x0
	v_cmp_lt_f64_e32 vcc_lo, v[2:3], v[4:5]
	v_dual_cndmask_b32 v3, v3, v5 :: v_dual_cndmask_b32 v2, v2, v4
	ds_store_b64 v1, v[2:3]
.LBB93_18:
	s_or_b32 exec_lo, exec_lo, s2
	s_delay_alu instid0(SALU_CYCLE_1)
	s_mov_b32 s2, exec_lo
	;; [unrolled: 15-line block ×4, first 2 shown]
	s_wait_dscnt 0x0
	s_barrier_signal -1
	s_barrier_wait -1
	v_cmpx_gt_u32_e32 2, v0
	s_cbranch_execz .LBB93_24
; %bb.23:
	ds_load_2addr_b64 v[2:5], v1 offset1:2
	s_wait_dscnt 0x0
	v_cmp_lt_f64_e32 vcc_lo, v[2:3], v[4:5]
	v_dual_cndmask_b32 v3, v3, v5 :: v_dual_cndmask_b32 v2, v2, v4
	ds_store_b64 v1, v[2:3]
.LBB93_24:
	s_or_b32 exec_lo, exec_lo, s2
	v_cmp_eq_u32_e32 vcc_lo, 0, v0
	s_wait_dscnt 0x0
	s_barrier_signal -1
	s_barrier_wait -1
	s_and_saveexec_b32 s3, vcc_lo
	s_cbranch_execz .LBB93_26
; %bb.25:
	v_mov_b32_e32 v4, 0
	ds_load_b128 v[0:3], v4
	s_wait_dscnt 0x0
	v_cmp_lt_f64_e64 s2, v[0:1], v[2:3]
	s_delay_alu instid0(VALU_DEP_1)
	v_dual_cndmask_b32 v1, v1, v3, s2 :: v_dual_cndmask_b32 v0, v0, v2, s2
	ds_store_b64 v4, v[0:1]
.LBB93_26:
	s_or_b32 exec_lo, exec_lo, s3
	s_wait_dscnt 0x0
	s_barrier_signal -1
	s_barrier_wait -1
	s_and_saveexec_b32 s2, vcc_lo
	s_cbranch_execz .LBB93_31
; %bb.27:
	v_mov_b32_e32 v0, 0
	s_load_b64 s[2:3], s[0:1], 0x18
	ds_load_b64 v[0:1], v0
	s_wait_kmcnt 0x0
	s_cmp_eq_u64 s[2:3], 0
	s_cbranch_scc1 .LBB93_29
; %bb.28:
	s_load_b64 s[2:3], s[2:3], 0x0
	s_wait_dscnt 0x0
	s_wait_kmcnt 0x0
	v_div_scale_f64 v[2:3], null, s[2:3], s[2:3], v[0:1]
	s_delay_alu instid0(VALU_DEP_1) | instskip(SKIP_1) | instid1(TRANS32_DEP_1)
	v_rcp_f64_e32 v[4:5], v[2:3]
	v_nop
	v_fma_f64 v[6:7], -v[2:3], v[4:5], 1.0
	s_delay_alu instid0(VALU_DEP_1) | instskip(NEXT) | instid1(VALU_DEP_1)
	v_fmac_f64_e32 v[4:5], v[4:5], v[6:7]
	v_fma_f64 v[6:7], -v[2:3], v[4:5], 1.0
	s_delay_alu instid0(VALU_DEP_1) | instskip(SKIP_1) | instid1(VALU_DEP_1)
	v_fmac_f64_e32 v[4:5], v[4:5], v[6:7]
	v_div_scale_f64 v[6:7], vcc_lo, v[0:1], s[2:3], v[0:1]
	v_mul_f64_e32 v[8:9], v[6:7], v[4:5]
	s_delay_alu instid0(VALU_DEP_1) | instskip(NEXT) | instid1(VALU_DEP_1)
	v_fma_f64 v[2:3], -v[2:3], v[8:9], v[6:7]
	v_div_fmas_f64 v[2:3], v[2:3], v[4:5], v[8:9]
	s_delay_alu instid0(VALU_DEP_1)
	v_div_fixup_f64 v[0:1], v[2:3], s[2:3], v[0:1]
.LBB93_29:
	v_mbcnt_lo_u32_b32 v2, exec_lo, 0
	s_delay_alu instid0(VALU_DEP_1)
	v_cmp_eq_u32_e32 vcc_lo, 0, v2
	s_and_b32 exec_lo, exec_lo, vcc_lo
	s_cbranch_execz .LBB93_31
; %bb.30:
	s_load_b64 s[0:1], s[0:1], 0x10
	v_mov_b32_e32 v2, 0
	s_wait_xcnt 0x0
	s_wait_dscnt 0x0
	s_wait_kmcnt 0x0
	global_atomic_max_num_f64 v2, v[0:1], s[0:1] scope:SCOPE_DEV
.LBB93_31:
	s_endpgm
	.section	.rodata,"a",@progbits
	.p2align	6, 0x0
	.amdhsa_kernel _ZN9rocsparseL13kernel_nrminfILj512E21rocsparse_complex_numIdEEEvmPKT0_PNS_15floating_traitsIS3_E6data_tEPKS8_
		.amdhsa_group_segment_fixed_size 4096
		.amdhsa_private_segment_fixed_size 0
		.amdhsa_kernarg_size 32
		.amdhsa_user_sgpr_count 2
		.amdhsa_user_sgpr_dispatch_ptr 0
		.amdhsa_user_sgpr_queue_ptr 0
		.amdhsa_user_sgpr_kernarg_segment_ptr 1
		.amdhsa_user_sgpr_dispatch_id 0
		.amdhsa_user_sgpr_kernarg_preload_length 0
		.amdhsa_user_sgpr_kernarg_preload_offset 0
		.amdhsa_user_sgpr_private_segment_size 0
		.amdhsa_wavefront_size32 1
		.amdhsa_uses_dynamic_stack 0
		.amdhsa_enable_private_segment 0
		.amdhsa_system_sgpr_workgroup_id_x 1
		.amdhsa_system_sgpr_workgroup_id_y 0
		.amdhsa_system_sgpr_workgroup_id_z 0
		.amdhsa_system_sgpr_workgroup_info 0
		.amdhsa_system_vgpr_workitem_id 0
		.amdhsa_next_free_vgpr 14
		.amdhsa_next_free_sgpr 7
		.amdhsa_named_barrier_count 0
		.amdhsa_reserve_vcc 1
		.amdhsa_float_round_mode_32 0
		.amdhsa_float_round_mode_16_64 0
		.amdhsa_float_denorm_mode_32 3
		.amdhsa_float_denorm_mode_16_64 3
		.amdhsa_fp16_overflow 0
		.amdhsa_memory_ordered 1
		.amdhsa_forward_progress 1
		.amdhsa_inst_pref_size 13
		.amdhsa_round_robin_scheduling 0
		.amdhsa_exception_fp_ieee_invalid_op 0
		.amdhsa_exception_fp_denorm_src 0
		.amdhsa_exception_fp_ieee_div_zero 0
		.amdhsa_exception_fp_ieee_overflow 0
		.amdhsa_exception_fp_ieee_underflow 0
		.amdhsa_exception_fp_ieee_inexact 0
		.amdhsa_exception_int_div_zero 0
	.end_amdhsa_kernel
	.section	.text._ZN9rocsparseL13kernel_nrminfILj512E21rocsparse_complex_numIdEEEvmPKT0_PNS_15floating_traitsIS3_E6data_tEPKS8_,"axG",@progbits,_ZN9rocsparseL13kernel_nrminfILj512E21rocsparse_complex_numIdEEEvmPKT0_PNS_15floating_traitsIS3_E6data_tEPKS8_,comdat
.Lfunc_end93:
	.size	_ZN9rocsparseL13kernel_nrminfILj512E21rocsparse_complex_numIdEEEvmPKT0_PNS_15floating_traitsIS3_E6data_tEPKS8_, .Lfunc_end93-_ZN9rocsparseL13kernel_nrminfILj512E21rocsparse_complex_numIdEEEvmPKT0_PNS_15floating_traitsIS3_E6data_tEPKS8_
                                        ; -- End function
	.set _ZN9rocsparseL13kernel_nrminfILj512E21rocsparse_complex_numIdEEEvmPKT0_PNS_15floating_traitsIS3_E6data_tEPKS8_.num_vgpr, 14
	.set _ZN9rocsparseL13kernel_nrminfILj512E21rocsparse_complex_numIdEEEvmPKT0_PNS_15floating_traitsIS3_E6data_tEPKS8_.num_agpr, 0
	.set _ZN9rocsparseL13kernel_nrminfILj512E21rocsparse_complex_numIdEEEvmPKT0_PNS_15floating_traitsIS3_E6data_tEPKS8_.numbered_sgpr, 7
	.set _ZN9rocsparseL13kernel_nrminfILj512E21rocsparse_complex_numIdEEEvmPKT0_PNS_15floating_traitsIS3_E6data_tEPKS8_.num_named_barrier, 0
	.set _ZN9rocsparseL13kernel_nrminfILj512E21rocsparse_complex_numIdEEEvmPKT0_PNS_15floating_traitsIS3_E6data_tEPKS8_.private_seg_size, 0
	.set _ZN9rocsparseL13kernel_nrminfILj512E21rocsparse_complex_numIdEEEvmPKT0_PNS_15floating_traitsIS3_E6data_tEPKS8_.uses_vcc, 1
	.set _ZN9rocsparseL13kernel_nrminfILj512E21rocsparse_complex_numIdEEEvmPKT0_PNS_15floating_traitsIS3_E6data_tEPKS8_.uses_flat_scratch, 0
	.set _ZN9rocsparseL13kernel_nrminfILj512E21rocsparse_complex_numIdEEEvmPKT0_PNS_15floating_traitsIS3_E6data_tEPKS8_.has_dyn_sized_stack, 0
	.set _ZN9rocsparseL13kernel_nrminfILj512E21rocsparse_complex_numIdEEEvmPKT0_PNS_15floating_traitsIS3_E6data_tEPKS8_.has_recursion, 0
	.set _ZN9rocsparseL13kernel_nrminfILj512E21rocsparse_complex_numIdEEEvmPKT0_PNS_15floating_traitsIS3_E6data_tEPKS8_.has_indirect_call, 0
	.section	.AMDGPU.csdata,"",@progbits
; Kernel info:
; codeLenInByte = 1560
; TotalNumSgprs: 9
; NumVgprs: 14
; ScratchSize: 0
; MemoryBound: 1
; FloatMode: 240
; IeeeMode: 1
; LDSByteSize: 4096 bytes/workgroup (compile time only)
; SGPRBlocks: 0
; VGPRBlocks: 0
; NumSGPRsForWavesPerEU: 9
; NumVGPRsForWavesPerEU: 14
; NamedBarCnt: 0
; Occupancy: 16
; WaveLimiterHint : 0
; COMPUTE_PGM_RSRC2:SCRATCH_EN: 0
; COMPUTE_PGM_RSRC2:USER_SGPR: 2
; COMPUTE_PGM_RSRC2:TRAP_HANDLER: 0
; COMPUTE_PGM_RSRC2:TGID_X_EN: 1
; COMPUTE_PGM_RSRC2:TGID_Y_EN: 0
; COMPUTE_PGM_RSRC2:TGID_Z_EN: 0
; COMPUTE_PGM_RSRC2:TIDIG_COMP_CNT: 0
	.section	.text._ZN9rocsparseL18kernel_nrminf_diffILj256EfEEvmPKT0_S3_PNS_15floating_traitsIS1_E6data_tEPKS6_,"axG",@progbits,_ZN9rocsparseL18kernel_nrminf_diffILj256EfEEvmPKT0_S3_PNS_15floating_traitsIS1_E6data_tEPKS6_,comdat
	.globl	_ZN9rocsparseL18kernel_nrminf_diffILj256EfEEvmPKT0_S3_PNS_15floating_traitsIS1_E6data_tEPKS6_ ; -- Begin function _ZN9rocsparseL18kernel_nrminf_diffILj256EfEEvmPKT0_S3_PNS_15floating_traitsIS1_E6data_tEPKS6_
	.p2align	8
	.type	_ZN9rocsparseL18kernel_nrminf_diffILj256EfEEvmPKT0_S3_PNS_15floating_traitsIS1_E6data_tEPKS6_,@function
_ZN9rocsparseL18kernel_nrminf_diffILj256EfEEvmPKT0_S3_PNS_15floating_traitsIS1_E6data_tEPKS6_: ; @_ZN9rocsparseL18kernel_nrminf_diffILj256EfEEvmPKT0_S3_PNS_15floating_traitsIS1_E6data_tEPKS6_
; %bb.0:
	s_load_b64 s[2:3], s[0:1], 0x0
	s_bfe_u32 s4, ttmp6, 0x4000c
	s_and_b32 s5, ttmp6, 15
	s_add_co_i32 s4, s4, 1
	s_getreg_b32 s6, hwreg(HW_REG_IB_STS2, 6, 4)
	s_mul_i32 s4, ttmp9, s4
	v_mov_b32_e32 v3, 0
	s_add_co_i32 s5, s5, s4
	s_cmp_eq_u32 s6, 0
	s_cselect_b32 s4, ttmp9, s5
	s_delay_alu instid0(SALU_CYCLE_1) | instskip(SKIP_1) | instid1(VALU_DEP_1)
	v_lshl_or_b32 v2, s4, 8, v0
	s_wait_kmcnt 0x0
	v_cmp_gt_u64_e32 vcc_lo, s[2:3], v[2:3]
	s_and_saveexec_b32 s2, vcc_lo
	s_cbranch_execz .LBB94_2
; %bb.1:
	s_load_b128 s[4:7], s[0:1], 0x8
	v_lshlrev_b64_e32 v[2:3], 2, v[2:3]
	s_wait_kmcnt 0x0
	s_delay_alu instid0(VALU_DEP_1)
	v_add_nc_u64_e32 v[4:5], s[4:5], v[2:3]
	v_add_nc_u64_e32 v[2:3], s[6:7], v[2:3]
	global_load_b32 v1, v[4:5], off
	global_load_b32 v6, v[2:3], off
	s_wait_loadcnt 0x0
	v_sub_f32_e32 v1, v1, v6
	s_delay_alu instid0(VALU_DEP_1)
	v_and_b32_e32 v3, 0x7fffffff, v1
.LBB94_2:
	s_or_b32 exec_lo, exec_lo, s2
	v_lshlrev_b32_e32 v1, 2, v0
	s_mov_b32 s2, exec_lo
	ds_store_b32 v1, v3
	s_wait_dscnt 0x0
	s_barrier_signal -1
	s_barrier_wait -1
	v_cmpx_gt_u32_e32 0x80, v0
	s_cbranch_execz .LBB94_4
; %bb.3:
	ds_load_2addr_stride64_b32 v[2:3], v1 offset1:2
	s_wait_dscnt 0x0
	v_cmp_lt_f32_e32 vcc_lo, v2, v3
	v_cndmask_b32_e32 v2, v2, v3, vcc_lo
	ds_store_b32 v1, v2
.LBB94_4:
	s_or_b32 exec_lo, exec_lo, s2
	s_delay_alu instid0(SALU_CYCLE_1)
	s_mov_b32 s2, exec_lo
	s_wait_dscnt 0x0
	s_barrier_signal -1
	s_barrier_wait -1
	v_cmpx_gt_u32_e32 64, v0
	s_cbranch_execz .LBB94_6
; %bb.5:
	ds_load_2addr_stride64_b32 v[2:3], v1 offset1:1
	s_wait_dscnt 0x0
	v_cmp_lt_f32_e32 vcc_lo, v2, v3
	v_cndmask_b32_e32 v2, v2, v3, vcc_lo
	ds_store_b32 v1, v2
.LBB94_6:
	s_or_b32 exec_lo, exec_lo, s2
	s_delay_alu instid0(SALU_CYCLE_1)
	s_mov_b32 s2, exec_lo
	s_wait_dscnt 0x0
	s_barrier_signal -1
	s_barrier_wait -1
	v_cmpx_gt_u32_e32 32, v0
	s_cbranch_execz .LBB94_8
; %bb.7:
	ds_load_2addr_b32 v[2:3], v1 offset1:32
	s_wait_dscnt 0x0
	v_cmp_lt_f32_e32 vcc_lo, v2, v3
	v_cndmask_b32_e32 v2, v2, v3, vcc_lo
	ds_store_b32 v1, v2
.LBB94_8:
	s_or_b32 exec_lo, exec_lo, s2
	s_delay_alu instid0(SALU_CYCLE_1)
	s_mov_b32 s2, exec_lo
	s_wait_dscnt 0x0
	s_barrier_signal -1
	s_barrier_wait -1
	v_cmpx_gt_u32_e32 16, v0
	s_cbranch_execz .LBB94_10
; %bb.9:
	ds_load_2addr_b32 v[2:3], v1 offset1:16
	s_wait_dscnt 0x0
	v_cmp_lt_f32_e32 vcc_lo, v2, v3
	v_cndmask_b32_e32 v2, v2, v3, vcc_lo
	ds_store_b32 v1, v2
.LBB94_10:
	;; [unrolled: 15-line block ×5, first 2 shown]
	s_or_b32 exec_lo, exec_lo, s2
	v_cmp_eq_u32_e32 vcc_lo, 0, v0
	s_wait_dscnt 0x0
	s_barrier_signal -1
	s_barrier_wait -1
	s_and_saveexec_b32 s3, vcc_lo
	s_cbranch_execz .LBB94_18
; %bb.17:
	v_mov_b32_e32 v2, 0
	ds_load_b64 v[0:1], v2
	s_wait_dscnt 0x0
	v_cmp_lt_f32_e64 s2, v0, v1
	s_delay_alu instid0(VALU_DEP_1)
	v_cndmask_b32_e64 v0, v0, v1, s2
	ds_store_b32 v2, v0
.LBB94_18:
	s_or_b32 exec_lo, exec_lo, s3
	s_wait_dscnt 0x0
	s_barrier_signal -1
	s_barrier_wait -1
	s_and_saveexec_b32 s2, vcc_lo
	s_cbranch_execz .LBB94_23
; %bb.19:
	v_mov_b32_e32 v0, 0
	s_load_b64 s[2:3], s[0:1], 0x20
	ds_load_b32 v0, v0
	s_wait_kmcnt 0x0
	s_cmp_eq_u64 s[2:3], 0
	s_cbranch_scc1 .LBB94_21
; %bb.20:
	s_load_b32 s2, s[2:3], 0x0
	s_wait_dscnt 0x0
	s_wait_kmcnt 0x0
	v_div_scale_f32 v1, null, s2, s2, v0
	s_delay_alu instid0(VALU_DEP_1)
	v_rcp_f32_e32 v2, v1
	v_nop
	v_xor_b32_e32 v1, 0x80000000, v1
	s_delay_alu instid0(TRANS32_DEP_1) | instid1(VALU_DEP_1)
	v_fma_f32 v3, v1, v2, 1.0
	s_delay_alu instid0(VALU_DEP_1) | instskip(SKIP_1) | instid1(VALU_DEP_1)
	v_fmac_f32_e32 v2, v3, v2
	v_div_scale_f32 v3, vcc_lo, v0, s2, v0
	v_mul_f32_e32 v4, v3, v2
	s_delay_alu instid0(VALU_DEP_1) | instskip(NEXT) | instid1(VALU_DEP_1)
	v_fma_f32 v5, v1, v4, v3
	v_fmac_f32_e32 v4, v5, v2
	s_delay_alu instid0(VALU_DEP_1) | instskip(NEXT) | instid1(VALU_DEP_1)
	v_fmac_f32_e32 v3, v1, v4
	v_div_fmas_f32 v1, v3, v2, v4
	s_delay_alu instid0(VALU_DEP_1)
	v_div_fixup_f32 v0, v1, s2, v0
.LBB94_21:
	v_mbcnt_lo_u32_b32 v1, exec_lo, 0
	s_delay_alu instid0(VALU_DEP_1)
	v_cmp_eq_u32_e32 vcc_lo, 0, v1
	s_and_b32 exec_lo, exec_lo, vcc_lo
	s_cbranch_execz .LBB94_23
; %bb.22:
	s_load_b64 s[0:1], s[0:1], 0x18
	v_mov_b32_e32 v1, 0
	s_wait_xcnt 0x0
	s_wait_dscnt 0x0
	s_wait_kmcnt 0x0
	global_atomic_max_num_f32 v1, v0, s[0:1] scope:SCOPE_DEV
.LBB94_23:
	s_endpgm
	.section	.rodata,"a",@progbits
	.p2align	6, 0x0
	.amdhsa_kernel _ZN9rocsparseL18kernel_nrminf_diffILj256EfEEvmPKT0_S3_PNS_15floating_traitsIS1_E6data_tEPKS6_
		.amdhsa_group_segment_fixed_size 1024
		.amdhsa_private_segment_fixed_size 0
		.amdhsa_kernarg_size 40
		.amdhsa_user_sgpr_count 2
		.amdhsa_user_sgpr_dispatch_ptr 0
		.amdhsa_user_sgpr_queue_ptr 0
		.amdhsa_user_sgpr_kernarg_segment_ptr 1
		.amdhsa_user_sgpr_dispatch_id 0
		.amdhsa_user_sgpr_kernarg_preload_length 0
		.amdhsa_user_sgpr_kernarg_preload_offset 0
		.amdhsa_user_sgpr_private_segment_size 0
		.amdhsa_wavefront_size32 1
		.amdhsa_uses_dynamic_stack 0
		.amdhsa_enable_private_segment 0
		.amdhsa_system_sgpr_workgroup_id_x 1
		.amdhsa_system_sgpr_workgroup_id_y 0
		.amdhsa_system_sgpr_workgroup_id_z 0
		.amdhsa_system_sgpr_workgroup_info 0
		.amdhsa_system_vgpr_workitem_id 0
		.amdhsa_next_free_vgpr 7
		.amdhsa_next_free_sgpr 8
		.amdhsa_named_barrier_count 0
		.amdhsa_reserve_vcc 1
		.amdhsa_float_round_mode_32 0
		.amdhsa_float_round_mode_16_64 0
		.amdhsa_float_denorm_mode_32 3
		.amdhsa_float_denorm_mode_16_64 3
		.amdhsa_fp16_overflow 0
		.amdhsa_memory_ordered 1
		.amdhsa_forward_progress 1
		.amdhsa_inst_pref_size 7
		.amdhsa_round_robin_scheduling 0
		.amdhsa_exception_fp_ieee_invalid_op 0
		.amdhsa_exception_fp_denorm_src 0
		.amdhsa_exception_fp_ieee_div_zero 0
		.amdhsa_exception_fp_ieee_overflow 0
		.amdhsa_exception_fp_ieee_underflow 0
		.amdhsa_exception_fp_ieee_inexact 0
		.amdhsa_exception_int_div_zero 0
	.end_amdhsa_kernel
	.section	.text._ZN9rocsparseL18kernel_nrminf_diffILj256EfEEvmPKT0_S3_PNS_15floating_traitsIS1_E6data_tEPKS6_,"axG",@progbits,_ZN9rocsparseL18kernel_nrminf_diffILj256EfEEvmPKT0_S3_PNS_15floating_traitsIS1_E6data_tEPKS6_,comdat
.Lfunc_end94:
	.size	_ZN9rocsparseL18kernel_nrminf_diffILj256EfEEvmPKT0_S3_PNS_15floating_traitsIS1_E6data_tEPKS6_, .Lfunc_end94-_ZN9rocsparseL18kernel_nrminf_diffILj256EfEEvmPKT0_S3_PNS_15floating_traitsIS1_E6data_tEPKS6_
                                        ; -- End function
	.set _ZN9rocsparseL18kernel_nrminf_diffILj256EfEEvmPKT0_S3_PNS_15floating_traitsIS1_E6data_tEPKS6_.num_vgpr, 7
	.set _ZN9rocsparseL18kernel_nrminf_diffILj256EfEEvmPKT0_S3_PNS_15floating_traitsIS1_E6data_tEPKS6_.num_agpr, 0
	.set _ZN9rocsparseL18kernel_nrminf_diffILj256EfEEvmPKT0_S3_PNS_15floating_traitsIS1_E6data_tEPKS6_.numbered_sgpr, 8
	.set _ZN9rocsparseL18kernel_nrminf_diffILj256EfEEvmPKT0_S3_PNS_15floating_traitsIS1_E6data_tEPKS6_.num_named_barrier, 0
	.set _ZN9rocsparseL18kernel_nrminf_diffILj256EfEEvmPKT0_S3_PNS_15floating_traitsIS1_E6data_tEPKS6_.private_seg_size, 0
	.set _ZN9rocsparseL18kernel_nrminf_diffILj256EfEEvmPKT0_S3_PNS_15floating_traitsIS1_E6data_tEPKS6_.uses_vcc, 1
	.set _ZN9rocsparseL18kernel_nrminf_diffILj256EfEEvmPKT0_S3_PNS_15floating_traitsIS1_E6data_tEPKS6_.uses_flat_scratch, 0
	.set _ZN9rocsparseL18kernel_nrminf_diffILj256EfEEvmPKT0_S3_PNS_15floating_traitsIS1_E6data_tEPKS6_.has_dyn_sized_stack, 0
	.set _ZN9rocsparseL18kernel_nrminf_diffILj256EfEEvmPKT0_S3_PNS_15floating_traitsIS1_E6data_tEPKS6_.has_recursion, 0
	.set _ZN9rocsparseL18kernel_nrminf_diffILj256EfEEvmPKT0_S3_PNS_15floating_traitsIS1_E6data_tEPKS6_.has_indirect_call, 0
	.section	.AMDGPU.csdata,"",@progbits
; Kernel info:
; codeLenInByte = 892
; TotalNumSgprs: 10
; NumVgprs: 7
; ScratchSize: 0
; MemoryBound: 0
; FloatMode: 240
; IeeeMode: 1
; LDSByteSize: 1024 bytes/workgroup (compile time only)
; SGPRBlocks: 0
; VGPRBlocks: 0
; NumSGPRsForWavesPerEU: 10
; NumVGPRsForWavesPerEU: 7
; NamedBarCnt: 0
; Occupancy: 16
; WaveLimiterHint : 0
; COMPUTE_PGM_RSRC2:SCRATCH_EN: 0
; COMPUTE_PGM_RSRC2:USER_SGPR: 2
; COMPUTE_PGM_RSRC2:TRAP_HANDLER: 0
; COMPUTE_PGM_RSRC2:TGID_X_EN: 1
; COMPUTE_PGM_RSRC2:TGID_Y_EN: 0
; COMPUTE_PGM_RSRC2:TGID_Z_EN: 0
; COMPUTE_PGM_RSRC2:TIDIG_COMP_CNT: 0
	.section	.text._ZN9rocsparseL13kernel_nrminfILj256EfEEvmPKT0_PNS_15floating_traitsIS1_E6data_tEPKS6_,"axG",@progbits,_ZN9rocsparseL13kernel_nrminfILj256EfEEvmPKT0_PNS_15floating_traitsIS1_E6data_tEPKS6_,comdat
	.globl	_ZN9rocsparseL13kernel_nrminfILj256EfEEvmPKT0_PNS_15floating_traitsIS1_E6data_tEPKS6_ ; -- Begin function _ZN9rocsparseL13kernel_nrminfILj256EfEEvmPKT0_PNS_15floating_traitsIS1_E6data_tEPKS6_
	.p2align	8
	.type	_ZN9rocsparseL13kernel_nrminfILj256EfEEvmPKT0_PNS_15floating_traitsIS1_E6data_tEPKS6_,@function
_ZN9rocsparseL13kernel_nrminfILj256EfEEvmPKT0_PNS_15floating_traitsIS1_E6data_tEPKS6_: ; @_ZN9rocsparseL13kernel_nrminfILj256EfEEvmPKT0_PNS_15floating_traitsIS1_E6data_tEPKS6_
; %bb.0:
	s_load_b64 s[2:3], s[0:1], 0x0
	s_bfe_u32 s4, ttmp6, 0x4000c
	s_and_b32 s5, ttmp6, 15
	s_add_co_i32 s4, s4, 1
	s_getreg_b32 s6, hwreg(HW_REG_IB_STS2, 6, 4)
	s_mul_i32 s4, ttmp9, s4
	v_mov_b32_e32 v3, 0
	s_add_co_i32 s5, s5, s4
	s_cmp_eq_u32 s6, 0
	s_cselect_b32 s4, ttmp9, s5
	s_delay_alu instid0(SALU_CYCLE_1) | instskip(SKIP_1) | instid1(VALU_DEP_1)
	v_lshl_or_b32 v2, s4, 8, v0
	s_wait_kmcnt 0x0
	v_cmp_gt_u64_e32 vcc_lo, s[2:3], v[2:3]
	s_and_saveexec_b32 s2, vcc_lo
	s_cbranch_execz .LBB95_2
; %bb.1:
	s_load_b64 s[4:5], s[0:1], 0x8
	s_wait_kmcnt 0x0
	v_lshl_add_u64 v[2:3], v[2:3], 2, s[4:5]
	global_load_b32 v1, v[2:3], off
	s_wait_loadcnt 0x0
	v_and_b32_e32 v3, 0x7fffffff, v1
.LBB95_2:
	s_or_b32 exec_lo, exec_lo, s2
	v_lshlrev_b32_e32 v1, 2, v0
	s_mov_b32 s2, exec_lo
	ds_store_b32 v1, v3
	s_wait_dscnt 0x0
	s_barrier_signal -1
	s_barrier_wait -1
	v_cmpx_gt_u32_e32 0x80, v0
	s_cbranch_execz .LBB95_4
; %bb.3:
	ds_load_2addr_stride64_b32 v[2:3], v1 offset1:2
	s_wait_dscnt 0x0
	v_cmp_lt_f32_e32 vcc_lo, v2, v3
	v_cndmask_b32_e32 v2, v2, v3, vcc_lo
	ds_store_b32 v1, v2
.LBB95_4:
	s_or_b32 exec_lo, exec_lo, s2
	s_delay_alu instid0(SALU_CYCLE_1)
	s_mov_b32 s2, exec_lo
	s_wait_dscnt 0x0
	s_barrier_signal -1
	s_barrier_wait -1
	v_cmpx_gt_u32_e32 64, v0
	s_cbranch_execz .LBB95_6
; %bb.5:
	ds_load_2addr_stride64_b32 v[2:3], v1 offset1:1
	s_wait_dscnt 0x0
	v_cmp_lt_f32_e32 vcc_lo, v2, v3
	v_cndmask_b32_e32 v2, v2, v3, vcc_lo
	ds_store_b32 v1, v2
.LBB95_6:
	s_or_b32 exec_lo, exec_lo, s2
	s_delay_alu instid0(SALU_CYCLE_1)
	s_mov_b32 s2, exec_lo
	s_wait_dscnt 0x0
	s_barrier_signal -1
	s_barrier_wait -1
	v_cmpx_gt_u32_e32 32, v0
	s_cbranch_execz .LBB95_8
; %bb.7:
	ds_load_2addr_b32 v[2:3], v1 offset1:32
	s_wait_dscnt 0x0
	v_cmp_lt_f32_e32 vcc_lo, v2, v3
	v_cndmask_b32_e32 v2, v2, v3, vcc_lo
	ds_store_b32 v1, v2
.LBB95_8:
	s_or_b32 exec_lo, exec_lo, s2
	s_delay_alu instid0(SALU_CYCLE_1)
	s_mov_b32 s2, exec_lo
	s_wait_dscnt 0x0
	s_barrier_signal -1
	s_barrier_wait -1
	v_cmpx_gt_u32_e32 16, v0
	s_cbranch_execz .LBB95_10
; %bb.9:
	ds_load_2addr_b32 v[2:3], v1 offset1:16
	s_wait_dscnt 0x0
	v_cmp_lt_f32_e32 vcc_lo, v2, v3
	v_cndmask_b32_e32 v2, v2, v3, vcc_lo
	ds_store_b32 v1, v2
.LBB95_10:
	;; [unrolled: 15-line block ×5, first 2 shown]
	s_or_b32 exec_lo, exec_lo, s2
	v_cmp_eq_u32_e32 vcc_lo, 0, v0
	s_wait_dscnt 0x0
	s_barrier_signal -1
	s_barrier_wait -1
	s_and_saveexec_b32 s3, vcc_lo
	s_cbranch_execz .LBB95_18
; %bb.17:
	v_mov_b32_e32 v2, 0
	ds_load_b64 v[0:1], v2
	s_wait_dscnt 0x0
	v_cmp_lt_f32_e64 s2, v0, v1
	s_delay_alu instid0(VALU_DEP_1)
	v_cndmask_b32_e64 v0, v0, v1, s2
	ds_store_b32 v2, v0
.LBB95_18:
	s_or_b32 exec_lo, exec_lo, s3
	s_wait_dscnt 0x0
	s_barrier_signal -1
	s_barrier_wait -1
	s_and_saveexec_b32 s2, vcc_lo
	s_cbranch_execz .LBB95_23
; %bb.19:
	v_mov_b32_e32 v0, 0
	s_load_b64 s[2:3], s[0:1], 0x18
	ds_load_b32 v0, v0
	s_wait_kmcnt 0x0
	s_cmp_eq_u64 s[2:3], 0
	s_cbranch_scc1 .LBB95_21
; %bb.20:
	s_load_b32 s2, s[2:3], 0x0
	s_wait_dscnt 0x0
	s_wait_kmcnt 0x0
	v_div_scale_f32 v1, null, s2, s2, v0
	s_delay_alu instid0(VALU_DEP_1)
	v_rcp_f32_e32 v2, v1
	v_nop
	v_xor_b32_e32 v1, 0x80000000, v1
	s_delay_alu instid0(TRANS32_DEP_1) | instid1(VALU_DEP_1)
	v_fma_f32 v3, v1, v2, 1.0
	s_delay_alu instid0(VALU_DEP_1) | instskip(SKIP_1) | instid1(VALU_DEP_1)
	v_fmac_f32_e32 v2, v3, v2
	v_div_scale_f32 v3, vcc_lo, v0, s2, v0
	v_mul_f32_e32 v4, v3, v2
	s_delay_alu instid0(VALU_DEP_1) | instskip(NEXT) | instid1(VALU_DEP_1)
	v_fma_f32 v5, v1, v4, v3
	v_fmac_f32_e32 v4, v5, v2
	s_delay_alu instid0(VALU_DEP_1) | instskip(NEXT) | instid1(VALU_DEP_1)
	v_fmac_f32_e32 v3, v1, v4
	v_div_fmas_f32 v1, v3, v2, v4
	s_delay_alu instid0(VALU_DEP_1)
	v_div_fixup_f32 v0, v1, s2, v0
.LBB95_21:
	v_mbcnt_lo_u32_b32 v1, exec_lo, 0
	s_delay_alu instid0(VALU_DEP_1)
	v_cmp_eq_u32_e32 vcc_lo, 0, v1
	s_and_b32 exec_lo, exec_lo, vcc_lo
	s_cbranch_execz .LBB95_23
; %bb.22:
	s_load_b64 s[0:1], s[0:1], 0x10
	v_mov_b32_e32 v1, 0
	s_wait_xcnt 0x0
	s_wait_dscnt 0x0
	s_wait_kmcnt 0x0
	global_atomic_max_num_f32 v1, v0, s[0:1] scope:SCOPE_DEV
.LBB95_23:
	s_endpgm
	.section	.rodata,"a",@progbits
	.p2align	6, 0x0
	.amdhsa_kernel _ZN9rocsparseL13kernel_nrminfILj256EfEEvmPKT0_PNS_15floating_traitsIS1_E6data_tEPKS6_
		.amdhsa_group_segment_fixed_size 1024
		.amdhsa_private_segment_fixed_size 0
		.amdhsa_kernarg_size 32
		.amdhsa_user_sgpr_count 2
		.amdhsa_user_sgpr_dispatch_ptr 0
		.amdhsa_user_sgpr_queue_ptr 0
		.amdhsa_user_sgpr_kernarg_segment_ptr 1
		.amdhsa_user_sgpr_dispatch_id 0
		.amdhsa_user_sgpr_kernarg_preload_length 0
		.amdhsa_user_sgpr_kernarg_preload_offset 0
		.amdhsa_user_sgpr_private_segment_size 0
		.amdhsa_wavefront_size32 1
		.amdhsa_uses_dynamic_stack 0
		.amdhsa_enable_private_segment 0
		.amdhsa_system_sgpr_workgroup_id_x 1
		.amdhsa_system_sgpr_workgroup_id_y 0
		.amdhsa_system_sgpr_workgroup_id_z 0
		.amdhsa_system_sgpr_workgroup_info 0
		.amdhsa_system_vgpr_workitem_id 0
		.amdhsa_next_free_vgpr 6
		.amdhsa_next_free_sgpr 7
		.amdhsa_named_barrier_count 0
		.amdhsa_reserve_vcc 1
		.amdhsa_float_round_mode_32 0
		.amdhsa_float_round_mode_16_64 0
		.amdhsa_float_denorm_mode_32 3
		.amdhsa_float_denorm_mode_16_64 3
		.amdhsa_fp16_overflow 0
		.amdhsa_memory_ordered 1
		.amdhsa_forward_progress 1
		.amdhsa_inst_pref_size 7
		.amdhsa_round_robin_scheduling 0
		.amdhsa_exception_fp_ieee_invalid_op 0
		.amdhsa_exception_fp_denorm_src 0
		.amdhsa_exception_fp_ieee_div_zero 0
		.amdhsa_exception_fp_ieee_overflow 0
		.amdhsa_exception_fp_ieee_underflow 0
		.amdhsa_exception_fp_ieee_inexact 0
		.amdhsa_exception_int_div_zero 0
	.end_amdhsa_kernel
	.section	.text._ZN9rocsparseL13kernel_nrminfILj256EfEEvmPKT0_PNS_15floating_traitsIS1_E6data_tEPKS6_,"axG",@progbits,_ZN9rocsparseL13kernel_nrminfILj256EfEEvmPKT0_PNS_15floating_traitsIS1_E6data_tEPKS6_,comdat
.Lfunc_end95:
	.size	_ZN9rocsparseL13kernel_nrminfILj256EfEEvmPKT0_PNS_15floating_traitsIS1_E6data_tEPKS6_, .Lfunc_end95-_ZN9rocsparseL13kernel_nrminfILj256EfEEvmPKT0_PNS_15floating_traitsIS1_E6data_tEPKS6_
                                        ; -- End function
	.set _ZN9rocsparseL13kernel_nrminfILj256EfEEvmPKT0_PNS_15floating_traitsIS1_E6data_tEPKS6_.num_vgpr, 6
	.set _ZN9rocsparseL13kernel_nrminfILj256EfEEvmPKT0_PNS_15floating_traitsIS1_E6data_tEPKS6_.num_agpr, 0
	.set _ZN9rocsparseL13kernel_nrminfILj256EfEEvmPKT0_PNS_15floating_traitsIS1_E6data_tEPKS6_.numbered_sgpr, 7
	.set _ZN9rocsparseL13kernel_nrminfILj256EfEEvmPKT0_PNS_15floating_traitsIS1_E6data_tEPKS6_.num_named_barrier, 0
	.set _ZN9rocsparseL13kernel_nrminfILj256EfEEvmPKT0_PNS_15floating_traitsIS1_E6data_tEPKS6_.private_seg_size, 0
	.set _ZN9rocsparseL13kernel_nrminfILj256EfEEvmPKT0_PNS_15floating_traitsIS1_E6data_tEPKS6_.uses_vcc, 1
	.set _ZN9rocsparseL13kernel_nrminfILj256EfEEvmPKT0_PNS_15floating_traitsIS1_E6data_tEPKS6_.uses_flat_scratch, 0
	.set _ZN9rocsparseL13kernel_nrminfILj256EfEEvmPKT0_PNS_15floating_traitsIS1_E6data_tEPKS6_.has_dyn_sized_stack, 0
	.set _ZN9rocsparseL13kernel_nrminfILj256EfEEvmPKT0_PNS_15floating_traitsIS1_E6data_tEPKS6_.has_recursion, 0
	.set _ZN9rocsparseL13kernel_nrminfILj256EfEEvmPKT0_PNS_15floating_traitsIS1_E6data_tEPKS6_.has_indirect_call, 0
	.section	.AMDGPU.csdata,"",@progbits
; Kernel info:
; codeLenInByte = 864
; TotalNumSgprs: 9
; NumVgprs: 6
; ScratchSize: 0
; MemoryBound: 0
; FloatMode: 240
; IeeeMode: 1
; LDSByteSize: 1024 bytes/workgroup (compile time only)
; SGPRBlocks: 0
; VGPRBlocks: 0
; NumSGPRsForWavesPerEU: 9
; NumVGPRsForWavesPerEU: 6
; NamedBarCnt: 0
; Occupancy: 16
; WaveLimiterHint : 0
; COMPUTE_PGM_RSRC2:SCRATCH_EN: 0
; COMPUTE_PGM_RSRC2:USER_SGPR: 2
; COMPUTE_PGM_RSRC2:TRAP_HANDLER: 0
; COMPUTE_PGM_RSRC2:TGID_X_EN: 1
; COMPUTE_PGM_RSRC2:TGID_Y_EN: 0
; COMPUTE_PGM_RSRC2:TGID_Z_EN: 0
; COMPUTE_PGM_RSRC2:TIDIG_COMP_CNT: 0
	.section	.text._ZN9rocsparseL18kernel_nrminf_diffILj256EdEEvmPKT0_S3_PNS_15floating_traitsIS1_E6data_tEPKS6_,"axG",@progbits,_ZN9rocsparseL18kernel_nrminf_diffILj256EdEEvmPKT0_S3_PNS_15floating_traitsIS1_E6data_tEPKS6_,comdat
	.globl	_ZN9rocsparseL18kernel_nrminf_diffILj256EdEEvmPKT0_S3_PNS_15floating_traitsIS1_E6data_tEPKS6_ ; -- Begin function _ZN9rocsparseL18kernel_nrminf_diffILj256EdEEvmPKT0_S3_PNS_15floating_traitsIS1_E6data_tEPKS6_
	.p2align	8
	.type	_ZN9rocsparseL18kernel_nrminf_diffILj256EdEEvmPKT0_S3_PNS_15floating_traitsIS1_E6data_tEPKS6_,@function
_ZN9rocsparseL18kernel_nrminf_diffILj256EdEEvmPKT0_S3_PNS_15floating_traitsIS1_E6data_tEPKS6_: ; @_ZN9rocsparseL18kernel_nrminf_diffILj256EdEEvmPKT0_S3_PNS_15floating_traitsIS1_E6data_tEPKS6_
; %bb.0:
	s_load_b64 s[2:3], s[0:1], 0x0
	s_bfe_u32 s4, ttmp6, 0x4000c
	s_and_b32 s5, ttmp6, 15
	s_add_co_i32 s4, s4, 1
	s_getreg_b32 s6, hwreg(HW_REG_IB_STS2, 6, 4)
	s_mul_i32 s4, ttmp9, s4
	v_mov_b32_e32 v5, 0
	s_add_co_i32 s5, s5, s4
	s_cmp_eq_u32 s6, 0
	v_mov_b64_e32 v[2:3], 0
	s_cselect_b32 s4, ttmp9, s5
	s_delay_alu instid0(SALU_CYCLE_1) | instskip(SKIP_1) | instid1(VALU_DEP_1)
	v_lshl_or_b32 v4, s4, 8, v0
	s_wait_kmcnt 0x0
	v_cmp_gt_u64_e32 vcc_lo, s[2:3], v[4:5]
	s_and_saveexec_b32 s2, vcc_lo
	s_cbranch_execz .LBB96_2
; %bb.1:
	s_load_b128 s[4:7], s[0:1], 0x8
	v_lshlrev_b64_e32 v[2:3], 3, v[4:5]
	s_wait_kmcnt 0x0
	s_delay_alu instid0(VALU_DEP_1)
	v_add_nc_u64_e32 v[4:5], s[4:5], v[2:3]
	v_add_nc_u64_e32 v[2:3], s[6:7], v[2:3]
	global_load_b64 v[6:7], v[4:5], off
	global_load_b64 v[8:9], v[2:3], off
	s_wait_loadcnt 0x0
	v_add_f64_e64 v[2:3], v[6:7], -v[8:9]
	s_delay_alu instid0(VALU_DEP_1)
	v_and_b32_e32 v3, 0x7fffffff, v3
.LBB96_2:
	s_or_b32 exec_lo, exec_lo, s2
	v_lshlrev_b32_e32 v1, 3, v0
	s_mov_b32 s2, exec_lo
	ds_store_b64 v1, v[2:3]
	s_wait_dscnt 0x0
	s_barrier_signal -1
	s_barrier_wait -1
	v_cmpx_gt_u32_e32 0x80, v0
	s_cbranch_execz .LBB96_4
; %bb.3:
	ds_load_2addr_stride64_b64 v[2:5], v1 offset1:2
	s_wait_dscnt 0x0
	v_cmp_lt_f64_e32 vcc_lo, v[2:3], v[4:5]
	v_dual_cndmask_b32 v3, v3, v5 :: v_dual_cndmask_b32 v2, v2, v4
	ds_store_b64 v1, v[2:3]
.LBB96_4:
	s_or_b32 exec_lo, exec_lo, s2
	s_delay_alu instid0(SALU_CYCLE_1)
	s_mov_b32 s2, exec_lo
	s_wait_dscnt 0x0
	s_barrier_signal -1
	s_barrier_wait -1
	v_cmpx_gt_u32_e32 64, v0
	s_cbranch_execz .LBB96_6
; %bb.5:
	ds_load_2addr_stride64_b64 v[2:5], v1 offset1:1
	s_wait_dscnt 0x0
	v_cmp_lt_f64_e32 vcc_lo, v[2:3], v[4:5]
	v_dual_cndmask_b32 v3, v3, v5 :: v_dual_cndmask_b32 v2, v2, v4
	ds_store_b64 v1, v[2:3]
.LBB96_6:
	s_or_b32 exec_lo, exec_lo, s2
	s_delay_alu instid0(SALU_CYCLE_1)
	s_mov_b32 s2, exec_lo
	s_wait_dscnt 0x0
	s_barrier_signal -1
	s_barrier_wait -1
	v_cmpx_gt_u32_e32 32, v0
	s_cbranch_execz .LBB96_8
; %bb.7:
	ds_load_2addr_b64 v[2:5], v1 offset1:32
	s_wait_dscnt 0x0
	v_cmp_lt_f64_e32 vcc_lo, v[2:3], v[4:5]
	v_dual_cndmask_b32 v3, v3, v5 :: v_dual_cndmask_b32 v2, v2, v4
	ds_store_b64 v1, v[2:3]
.LBB96_8:
	s_or_b32 exec_lo, exec_lo, s2
	s_delay_alu instid0(SALU_CYCLE_1)
	s_mov_b32 s2, exec_lo
	s_wait_dscnt 0x0
	s_barrier_signal -1
	s_barrier_wait -1
	v_cmpx_gt_u32_e32 16, v0
	s_cbranch_execz .LBB96_10
; %bb.9:
	ds_load_2addr_b64 v[2:5], v1 offset1:16
	s_wait_dscnt 0x0
	v_cmp_lt_f64_e32 vcc_lo, v[2:3], v[4:5]
	v_dual_cndmask_b32 v3, v3, v5 :: v_dual_cndmask_b32 v2, v2, v4
	ds_store_b64 v1, v[2:3]
.LBB96_10:
	;; [unrolled: 15-line block ×5, first 2 shown]
	s_or_b32 exec_lo, exec_lo, s2
	v_cmp_eq_u32_e32 vcc_lo, 0, v0
	s_wait_dscnt 0x0
	s_barrier_signal -1
	s_barrier_wait -1
	s_and_saveexec_b32 s3, vcc_lo
	s_cbranch_execz .LBB96_18
; %bb.17:
	v_mov_b32_e32 v4, 0
	ds_load_b128 v[0:3], v4
	s_wait_dscnt 0x0
	v_cmp_lt_f64_e64 s2, v[0:1], v[2:3]
	s_delay_alu instid0(VALU_DEP_1)
	v_dual_cndmask_b32 v1, v1, v3, s2 :: v_dual_cndmask_b32 v0, v0, v2, s2
	ds_store_b64 v4, v[0:1]
.LBB96_18:
	s_or_b32 exec_lo, exec_lo, s3
	s_wait_dscnt 0x0
	s_barrier_signal -1
	s_barrier_wait -1
	s_and_saveexec_b32 s2, vcc_lo
	s_cbranch_execz .LBB96_23
; %bb.19:
	v_mov_b32_e32 v0, 0
	s_load_b64 s[2:3], s[0:1], 0x20
	ds_load_b64 v[0:1], v0
	s_wait_kmcnt 0x0
	s_cmp_eq_u64 s[2:3], 0
	s_cbranch_scc1 .LBB96_21
; %bb.20:
	s_load_b64 s[2:3], s[2:3], 0x0
	s_wait_dscnt 0x0
	s_wait_kmcnt 0x0
	v_div_scale_f64 v[2:3], null, s[2:3], s[2:3], v[0:1]
	s_delay_alu instid0(VALU_DEP_1) | instskip(SKIP_1) | instid1(TRANS32_DEP_1)
	v_rcp_f64_e32 v[4:5], v[2:3]
	v_nop
	v_fma_f64 v[6:7], -v[2:3], v[4:5], 1.0
	s_delay_alu instid0(VALU_DEP_1) | instskip(NEXT) | instid1(VALU_DEP_1)
	v_fmac_f64_e32 v[4:5], v[4:5], v[6:7]
	v_fma_f64 v[6:7], -v[2:3], v[4:5], 1.0
	s_delay_alu instid0(VALU_DEP_1) | instskip(SKIP_1) | instid1(VALU_DEP_1)
	v_fmac_f64_e32 v[4:5], v[4:5], v[6:7]
	v_div_scale_f64 v[6:7], vcc_lo, v[0:1], s[2:3], v[0:1]
	v_mul_f64_e32 v[8:9], v[6:7], v[4:5]
	s_delay_alu instid0(VALU_DEP_1) | instskip(NEXT) | instid1(VALU_DEP_1)
	v_fma_f64 v[2:3], -v[2:3], v[8:9], v[6:7]
	v_div_fmas_f64 v[2:3], v[2:3], v[4:5], v[8:9]
	s_delay_alu instid0(VALU_DEP_1)
	v_div_fixup_f64 v[0:1], v[2:3], s[2:3], v[0:1]
.LBB96_21:
	v_mbcnt_lo_u32_b32 v2, exec_lo, 0
	s_delay_alu instid0(VALU_DEP_1)
	v_cmp_eq_u32_e32 vcc_lo, 0, v2
	s_and_b32 exec_lo, exec_lo, vcc_lo
	s_cbranch_execz .LBB96_23
; %bb.22:
	s_load_b64 s[0:1], s[0:1], 0x18
	v_mov_b32_e32 v2, 0
	s_wait_xcnt 0x0
	s_wait_dscnt 0x0
	s_wait_kmcnt 0x0
	global_atomic_max_num_f64 v2, v[0:1], s[0:1] scope:SCOPE_DEV
.LBB96_23:
	s_endpgm
	.section	.rodata,"a",@progbits
	.p2align	6, 0x0
	.amdhsa_kernel _ZN9rocsparseL18kernel_nrminf_diffILj256EdEEvmPKT0_S3_PNS_15floating_traitsIS1_E6data_tEPKS6_
		.amdhsa_group_segment_fixed_size 2048
		.amdhsa_private_segment_fixed_size 0
		.amdhsa_kernarg_size 40
		.amdhsa_user_sgpr_count 2
		.amdhsa_user_sgpr_dispatch_ptr 0
		.amdhsa_user_sgpr_queue_ptr 0
		.amdhsa_user_sgpr_kernarg_segment_ptr 1
		.amdhsa_user_sgpr_dispatch_id 0
		.amdhsa_user_sgpr_kernarg_preload_length 0
		.amdhsa_user_sgpr_kernarg_preload_offset 0
		.amdhsa_user_sgpr_private_segment_size 0
		.amdhsa_wavefront_size32 1
		.amdhsa_uses_dynamic_stack 0
		.amdhsa_enable_private_segment 0
		.amdhsa_system_sgpr_workgroup_id_x 1
		.amdhsa_system_sgpr_workgroup_id_y 0
		.amdhsa_system_sgpr_workgroup_id_z 0
		.amdhsa_system_sgpr_workgroup_info 0
		.amdhsa_system_vgpr_workitem_id 0
		.amdhsa_next_free_vgpr 10
		.amdhsa_next_free_sgpr 8
		.amdhsa_named_barrier_count 0
		.amdhsa_reserve_vcc 1
		.amdhsa_float_round_mode_32 0
		.amdhsa_float_round_mode_16_64 0
		.amdhsa_float_denorm_mode_32 3
		.amdhsa_float_denorm_mode_16_64 3
		.amdhsa_fp16_overflow 0
		.amdhsa_memory_ordered 1
		.amdhsa_forward_progress 1
		.amdhsa_inst_pref_size 8
		.amdhsa_round_robin_scheduling 0
		.amdhsa_exception_fp_ieee_invalid_op 0
		.amdhsa_exception_fp_denorm_src 0
		.amdhsa_exception_fp_ieee_div_zero 0
		.amdhsa_exception_fp_ieee_overflow 0
		.amdhsa_exception_fp_ieee_underflow 0
		.amdhsa_exception_fp_ieee_inexact 0
		.amdhsa_exception_int_div_zero 0
	.end_amdhsa_kernel
	.section	.text._ZN9rocsparseL18kernel_nrminf_diffILj256EdEEvmPKT0_S3_PNS_15floating_traitsIS1_E6data_tEPKS6_,"axG",@progbits,_ZN9rocsparseL18kernel_nrminf_diffILj256EdEEvmPKT0_S3_PNS_15floating_traitsIS1_E6data_tEPKS6_,comdat
.Lfunc_end96:
	.size	_ZN9rocsparseL18kernel_nrminf_diffILj256EdEEvmPKT0_S3_PNS_15floating_traitsIS1_E6data_tEPKS6_, .Lfunc_end96-_ZN9rocsparseL18kernel_nrminf_diffILj256EdEEvmPKT0_S3_PNS_15floating_traitsIS1_E6data_tEPKS6_
                                        ; -- End function
	.set _ZN9rocsparseL18kernel_nrminf_diffILj256EdEEvmPKT0_S3_PNS_15floating_traitsIS1_E6data_tEPKS6_.num_vgpr, 10
	.set _ZN9rocsparseL18kernel_nrminf_diffILj256EdEEvmPKT0_S3_PNS_15floating_traitsIS1_E6data_tEPKS6_.num_agpr, 0
	.set _ZN9rocsparseL18kernel_nrminf_diffILj256EdEEvmPKT0_S3_PNS_15floating_traitsIS1_E6data_tEPKS6_.numbered_sgpr, 8
	.set _ZN9rocsparseL18kernel_nrminf_diffILj256EdEEvmPKT0_S3_PNS_15floating_traitsIS1_E6data_tEPKS6_.num_named_barrier, 0
	.set _ZN9rocsparseL18kernel_nrminf_diffILj256EdEEvmPKT0_S3_PNS_15floating_traitsIS1_E6data_tEPKS6_.private_seg_size, 0
	.set _ZN9rocsparseL18kernel_nrminf_diffILj256EdEEvmPKT0_S3_PNS_15floating_traitsIS1_E6data_tEPKS6_.uses_vcc, 1
	.set _ZN9rocsparseL18kernel_nrminf_diffILj256EdEEvmPKT0_S3_PNS_15floating_traitsIS1_E6data_tEPKS6_.uses_flat_scratch, 0
	.set _ZN9rocsparseL18kernel_nrminf_diffILj256EdEEvmPKT0_S3_PNS_15floating_traitsIS1_E6data_tEPKS6_.has_dyn_sized_stack, 0
	.set _ZN9rocsparseL18kernel_nrminf_diffILj256EdEEvmPKT0_S3_PNS_15floating_traitsIS1_E6data_tEPKS6_.has_recursion, 0
	.set _ZN9rocsparseL18kernel_nrminf_diffILj256EdEEvmPKT0_S3_PNS_15floating_traitsIS1_E6data_tEPKS6_.has_indirect_call, 0
	.section	.AMDGPU.csdata,"",@progbits
; Kernel info:
; codeLenInByte = 924
; TotalNumSgprs: 10
; NumVgprs: 10
; ScratchSize: 0
; MemoryBound: 1
; FloatMode: 240
; IeeeMode: 1
; LDSByteSize: 2048 bytes/workgroup (compile time only)
; SGPRBlocks: 0
; VGPRBlocks: 0
; NumSGPRsForWavesPerEU: 10
; NumVGPRsForWavesPerEU: 10
; NamedBarCnt: 0
; Occupancy: 16
; WaveLimiterHint : 0
; COMPUTE_PGM_RSRC2:SCRATCH_EN: 0
; COMPUTE_PGM_RSRC2:USER_SGPR: 2
; COMPUTE_PGM_RSRC2:TRAP_HANDLER: 0
; COMPUTE_PGM_RSRC2:TGID_X_EN: 1
; COMPUTE_PGM_RSRC2:TGID_Y_EN: 0
; COMPUTE_PGM_RSRC2:TGID_Z_EN: 0
; COMPUTE_PGM_RSRC2:TIDIG_COMP_CNT: 0
	.section	.text._ZN9rocsparseL13kernel_nrminfILj256EdEEvmPKT0_PNS_15floating_traitsIS1_E6data_tEPKS6_,"axG",@progbits,_ZN9rocsparseL13kernel_nrminfILj256EdEEvmPKT0_PNS_15floating_traitsIS1_E6data_tEPKS6_,comdat
	.globl	_ZN9rocsparseL13kernel_nrminfILj256EdEEvmPKT0_PNS_15floating_traitsIS1_E6data_tEPKS6_ ; -- Begin function _ZN9rocsparseL13kernel_nrminfILj256EdEEvmPKT0_PNS_15floating_traitsIS1_E6data_tEPKS6_
	.p2align	8
	.type	_ZN9rocsparseL13kernel_nrminfILj256EdEEvmPKT0_PNS_15floating_traitsIS1_E6data_tEPKS6_,@function
_ZN9rocsparseL13kernel_nrminfILj256EdEEvmPKT0_PNS_15floating_traitsIS1_E6data_tEPKS6_: ; @_ZN9rocsparseL13kernel_nrminfILj256EdEEvmPKT0_PNS_15floating_traitsIS1_E6data_tEPKS6_
; %bb.0:
	s_load_b64 s[2:3], s[0:1], 0x0
	s_bfe_u32 s4, ttmp6, 0x4000c
	s_and_b32 s5, ttmp6, 15
	s_add_co_i32 s4, s4, 1
	s_getreg_b32 s6, hwreg(HW_REG_IB_STS2, 6, 4)
	s_mul_i32 s4, ttmp9, s4
	v_mov_b32_e32 v5, 0
	s_add_co_i32 s5, s5, s4
	s_cmp_eq_u32 s6, 0
	v_mov_b64_e32 v[2:3], 0
	s_cselect_b32 s4, ttmp9, s5
	s_delay_alu instid0(SALU_CYCLE_1) | instskip(SKIP_1) | instid1(VALU_DEP_1)
	v_lshl_or_b32 v4, s4, 8, v0
	s_wait_kmcnt 0x0
	v_cmp_gt_u64_e32 vcc_lo, s[2:3], v[4:5]
	s_and_saveexec_b32 s2, vcc_lo
	s_cbranch_execz .LBB97_2
; %bb.1:
	s_load_b64 s[4:5], s[0:1], 0x8
	s_wait_kmcnt 0x0
	v_lshl_add_u64 v[2:3], v[4:5], 3, s[4:5]
	global_load_b64 v[2:3], v[2:3], off
	s_wait_loadcnt 0x0
	v_and_b32_e32 v3, 0x7fffffff, v3
.LBB97_2:
	s_or_b32 exec_lo, exec_lo, s2
	v_lshlrev_b32_e32 v1, 3, v0
	s_mov_b32 s2, exec_lo
	ds_store_b64 v1, v[2:3]
	s_wait_dscnt 0x0
	s_barrier_signal -1
	s_barrier_wait -1
	v_cmpx_gt_u32_e32 0x80, v0
	s_cbranch_execz .LBB97_4
; %bb.3:
	ds_load_2addr_stride64_b64 v[2:5], v1 offset1:2
	s_wait_dscnt 0x0
	v_cmp_lt_f64_e32 vcc_lo, v[2:3], v[4:5]
	v_dual_cndmask_b32 v3, v3, v5 :: v_dual_cndmask_b32 v2, v2, v4
	ds_store_b64 v1, v[2:3]
.LBB97_4:
	s_or_b32 exec_lo, exec_lo, s2
	s_delay_alu instid0(SALU_CYCLE_1)
	s_mov_b32 s2, exec_lo
	s_wait_dscnt 0x0
	s_barrier_signal -1
	s_barrier_wait -1
	v_cmpx_gt_u32_e32 64, v0
	s_cbranch_execz .LBB97_6
; %bb.5:
	ds_load_2addr_stride64_b64 v[2:5], v1 offset1:1
	s_wait_dscnt 0x0
	v_cmp_lt_f64_e32 vcc_lo, v[2:3], v[4:5]
	v_dual_cndmask_b32 v3, v3, v5 :: v_dual_cndmask_b32 v2, v2, v4
	ds_store_b64 v1, v[2:3]
.LBB97_6:
	s_or_b32 exec_lo, exec_lo, s2
	s_delay_alu instid0(SALU_CYCLE_1)
	s_mov_b32 s2, exec_lo
	s_wait_dscnt 0x0
	s_barrier_signal -1
	s_barrier_wait -1
	v_cmpx_gt_u32_e32 32, v0
	s_cbranch_execz .LBB97_8
; %bb.7:
	ds_load_2addr_b64 v[2:5], v1 offset1:32
	s_wait_dscnt 0x0
	v_cmp_lt_f64_e32 vcc_lo, v[2:3], v[4:5]
	v_dual_cndmask_b32 v3, v3, v5 :: v_dual_cndmask_b32 v2, v2, v4
	ds_store_b64 v1, v[2:3]
.LBB97_8:
	s_or_b32 exec_lo, exec_lo, s2
	s_delay_alu instid0(SALU_CYCLE_1)
	s_mov_b32 s2, exec_lo
	s_wait_dscnt 0x0
	s_barrier_signal -1
	s_barrier_wait -1
	v_cmpx_gt_u32_e32 16, v0
	s_cbranch_execz .LBB97_10
; %bb.9:
	ds_load_2addr_b64 v[2:5], v1 offset1:16
	s_wait_dscnt 0x0
	v_cmp_lt_f64_e32 vcc_lo, v[2:3], v[4:5]
	v_dual_cndmask_b32 v3, v3, v5 :: v_dual_cndmask_b32 v2, v2, v4
	ds_store_b64 v1, v[2:3]
.LBB97_10:
	;; [unrolled: 15-line block ×5, first 2 shown]
	s_or_b32 exec_lo, exec_lo, s2
	v_cmp_eq_u32_e32 vcc_lo, 0, v0
	s_wait_dscnt 0x0
	s_barrier_signal -1
	s_barrier_wait -1
	s_and_saveexec_b32 s3, vcc_lo
	s_cbranch_execz .LBB97_18
; %bb.17:
	v_mov_b32_e32 v4, 0
	ds_load_b128 v[0:3], v4
	s_wait_dscnt 0x0
	v_cmp_lt_f64_e64 s2, v[0:1], v[2:3]
	s_delay_alu instid0(VALU_DEP_1)
	v_dual_cndmask_b32 v1, v1, v3, s2 :: v_dual_cndmask_b32 v0, v0, v2, s2
	ds_store_b64 v4, v[0:1]
.LBB97_18:
	s_or_b32 exec_lo, exec_lo, s3
	s_wait_dscnt 0x0
	s_barrier_signal -1
	s_barrier_wait -1
	s_and_saveexec_b32 s2, vcc_lo
	s_cbranch_execz .LBB97_23
; %bb.19:
	v_mov_b32_e32 v0, 0
	s_load_b64 s[2:3], s[0:1], 0x18
	ds_load_b64 v[0:1], v0
	s_wait_kmcnt 0x0
	s_cmp_eq_u64 s[2:3], 0
	s_cbranch_scc1 .LBB97_21
; %bb.20:
	s_load_b64 s[2:3], s[2:3], 0x0
	s_wait_dscnt 0x0
	s_wait_kmcnt 0x0
	v_div_scale_f64 v[2:3], null, s[2:3], s[2:3], v[0:1]
	s_delay_alu instid0(VALU_DEP_1) | instskip(SKIP_1) | instid1(TRANS32_DEP_1)
	v_rcp_f64_e32 v[4:5], v[2:3]
	v_nop
	v_fma_f64 v[6:7], -v[2:3], v[4:5], 1.0
	s_delay_alu instid0(VALU_DEP_1) | instskip(NEXT) | instid1(VALU_DEP_1)
	v_fmac_f64_e32 v[4:5], v[4:5], v[6:7]
	v_fma_f64 v[6:7], -v[2:3], v[4:5], 1.0
	s_delay_alu instid0(VALU_DEP_1) | instskip(SKIP_1) | instid1(VALU_DEP_1)
	v_fmac_f64_e32 v[4:5], v[4:5], v[6:7]
	v_div_scale_f64 v[6:7], vcc_lo, v[0:1], s[2:3], v[0:1]
	v_mul_f64_e32 v[8:9], v[6:7], v[4:5]
	s_delay_alu instid0(VALU_DEP_1) | instskip(NEXT) | instid1(VALU_DEP_1)
	v_fma_f64 v[2:3], -v[2:3], v[8:9], v[6:7]
	v_div_fmas_f64 v[2:3], v[2:3], v[4:5], v[8:9]
	s_delay_alu instid0(VALU_DEP_1)
	v_div_fixup_f64 v[0:1], v[2:3], s[2:3], v[0:1]
.LBB97_21:
	v_mbcnt_lo_u32_b32 v2, exec_lo, 0
	s_delay_alu instid0(VALU_DEP_1)
	v_cmp_eq_u32_e32 vcc_lo, 0, v2
	s_and_b32 exec_lo, exec_lo, vcc_lo
	s_cbranch_execz .LBB97_23
; %bb.22:
	s_load_b64 s[0:1], s[0:1], 0x10
	v_mov_b32_e32 v2, 0
	s_wait_xcnt 0x0
	s_wait_dscnt 0x0
	s_wait_kmcnt 0x0
	global_atomic_max_num_f64 v2, v[0:1], s[0:1] scope:SCOPE_DEV
.LBB97_23:
	s_endpgm
	.section	.rodata,"a",@progbits
	.p2align	6, 0x0
	.amdhsa_kernel _ZN9rocsparseL13kernel_nrminfILj256EdEEvmPKT0_PNS_15floating_traitsIS1_E6data_tEPKS6_
		.amdhsa_group_segment_fixed_size 2048
		.amdhsa_private_segment_fixed_size 0
		.amdhsa_kernarg_size 32
		.amdhsa_user_sgpr_count 2
		.amdhsa_user_sgpr_dispatch_ptr 0
		.amdhsa_user_sgpr_queue_ptr 0
		.amdhsa_user_sgpr_kernarg_segment_ptr 1
		.amdhsa_user_sgpr_dispatch_id 0
		.amdhsa_user_sgpr_kernarg_preload_length 0
		.amdhsa_user_sgpr_kernarg_preload_offset 0
		.amdhsa_user_sgpr_private_segment_size 0
		.amdhsa_wavefront_size32 1
		.amdhsa_uses_dynamic_stack 0
		.amdhsa_enable_private_segment 0
		.amdhsa_system_sgpr_workgroup_id_x 1
		.amdhsa_system_sgpr_workgroup_id_y 0
		.amdhsa_system_sgpr_workgroup_id_z 0
		.amdhsa_system_sgpr_workgroup_info 0
		.amdhsa_system_vgpr_workitem_id 0
		.amdhsa_next_free_vgpr 10
		.amdhsa_next_free_sgpr 7
		.amdhsa_named_barrier_count 0
		.amdhsa_reserve_vcc 1
		.amdhsa_float_round_mode_32 0
		.amdhsa_float_round_mode_16_64 0
		.amdhsa_float_denorm_mode_32 3
		.amdhsa_float_denorm_mode_16_64 3
		.amdhsa_fp16_overflow 0
		.amdhsa_memory_ordered 1
		.amdhsa_forward_progress 1
		.amdhsa_inst_pref_size 7
		.amdhsa_round_robin_scheduling 0
		.amdhsa_exception_fp_ieee_invalid_op 0
		.amdhsa_exception_fp_denorm_src 0
		.amdhsa_exception_fp_ieee_div_zero 0
		.amdhsa_exception_fp_ieee_overflow 0
		.amdhsa_exception_fp_ieee_underflow 0
		.amdhsa_exception_fp_ieee_inexact 0
		.amdhsa_exception_int_div_zero 0
	.end_amdhsa_kernel
	.section	.text._ZN9rocsparseL13kernel_nrminfILj256EdEEvmPKT0_PNS_15floating_traitsIS1_E6data_tEPKS6_,"axG",@progbits,_ZN9rocsparseL13kernel_nrminfILj256EdEEvmPKT0_PNS_15floating_traitsIS1_E6data_tEPKS6_,comdat
.Lfunc_end97:
	.size	_ZN9rocsparseL13kernel_nrminfILj256EdEEvmPKT0_PNS_15floating_traitsIS1_E6data_tEPKS6_, .Lfunc_end97-_ZN9rocsparseL13kernel_nrminfILj256EdEEvmPKT0_PNS_15floating_traitsIS1_E6data_tEPKS6_
                                        ; -- End function
	.set _ZN9rocsparseL13kernel_nrminfILj256EdEEvmPKT0_PNS_15floating_traitsIS1_E6data_tEPKS6_.num_vgpr, 10
	.set _ZN9rocsparseL13kernel_nrminfILj256EdEEvmPKT0_PNS_15floating_traitsIS1_E6data_tEPKS6_.num_agpr, 0
	.set _ZN9rocsparseL13kernel_nrminfILj256EdEEvmPKT0_PNS_15floating_traitsIS1_E6data_tEPKS6_.numbered_sgpr, 7
	.set _ZN9rocsparseL13kernel_nrminfILj256EdEEvmPKT0_PNS_15floating_traitsIS1_E6data_tEPKS6_.num_named_barrier, 0
	.set _ZN9rocsparseL13kernel_nrminfILj256EdEEvmPKT0_PNS_15floating_traitsIS1_E6data_tEPKS6_.private_seg_size, 0
	.set _ZN9rocsparseL13kernel_nrminfILj256EdEEvmPKT0_PNS_15floating_traitsIS1_E6data_tEPKS6_.uses_vcc, 1
	.set _ZN9rocsparseL13kernel_nrminfILj256EdEEvmPKT0_PNS_15floating_traitsIS1_E6data_tEPKS6_.uses_flat_scratch, 0
	.set _ZN9rocsparseL13kernel_nrminfILj256EdEEvmPKT0_PNS_15floating_traitsIS1_E6data_tEPKS6_.has_dyn_sized_stack, 0
	.set _ZN9rocsparseL13kernel_nrminfILj256EdEEvmPKT0_PNS_15floating_traitsIS1_E6data_tEPKS6_.has_recursion, 0
	.set _ZN9rocsparseL13kernel_nrminfILj256EdEEvmPKT0_PNS_15floating_traitsIS1_E6data_tEPKS6_.has_indirect_call, 0
	.section	.AMDGPU.csdata,"",@progbits
; Kernel info:
; codeLenInByte = 892
; TotalNumSgprs: 9
; NumVgprs: 10
; ScratchSize: 0
; MemoryBound: 1
; FloatMode: 240
; IeeeMode: 1
; LDSByteSize: 2048 bytes/workgroup (compile time only)
; SGPRBlocks: 0
; VGPRBlocks: 0
; NumSGPRsForWavesPerEU: 9
; NumVGPRsForWavesPerEU: 10
; NamedBarCnt: 0
; Occupancy: 16
; WaveLimiterHint : 0
; COMPUTE_PGM_RSRC2:SCRATCH_EN: 0
; COMPUTE_PGM_RSRC2:USER_SGPR: 2
; COMPUTE_PGM_RSRC2:TRAP_HANDLER: 0
; COMPUTE_PGM_RSRC2:TGID_X_EN: 1
; COMPUTE_PGM_RSRC2:TGID_Y_EN: 0
; COMPUTE_PGM_RSRC2:TGID_Z_EN: 0
; COMPUTE_PGM_RSRC2:TIDIG_COMP_CNT: 0
	.section	.text._ZN9rocsparseL18kernel_nrminf_diffILj256E21rocsparse_complex_numIfEEEvmPKT0_S5_PNS_15floating_traitsIS3_E6data_tEPKS8_,"axG",@progbits,_ZN9rocsparseL18kernel_nrminf_diffILj256E21rocsparse_complex_numIfEEEvmPKT0_S5_PNS_15floating_traitsIS3_E6data_tEPKS8_,comdat
	.globl	_ZN9rocsparseL18kernel_nrminf_diffILj256E21rocsparse_complex_numIfEEEvmPKT0_S5_PNS_15floating_traitsIS3_E6data_tEPKS8_ ; -- Begin function _ZN9rocsparseL18kernel_nrminf_diffILj256E21rocsparse_complex_numIfEEEvmPKT0_S5_PNS_15floating_traitsIS3_E6data_tEPKS8_
	.p2align	8
	.type	_ZN9rocsparseL18kernel_nrminf_diffILj256E21rocsparse_complex_numIfEEEvmPKT0_S5_PNS_15floating_traitsIS3_E6data_tEPKS8_,@function
_ZN9rocsparseL18kernel_nrminf_diffILj256E21rocsparse_complex_numIfEEEvmPKT0_S5_PNS_15floating_traitsIS3_E6data_tEPKS8_: ; @_ZN9rocsparseL18kernel_nrminf_diffILj256E21rocsparse_complex_numIfEEEvmPKT0_S5_PNS_15floating_traitsIS3_E6data_tEPKS8_
; %bb.0:
	s_load_b64 s[2:3], s[0:1], 0x0
	s_bfe_u32 s4, ttmp6, 0x4000c
	s_and_b32 s5, ttmp6, 15
	s_add_co_i32 s4, s4, 1
	s_getreg_b32 s6, hwreg(HW_REG_IB_STS2, 6, 4)
	s_mul_i32 s4, ttmp9, s4
	v_mov_b32_e32 v3, 0
	s_add_co_i32 s5, s5, s4
	s_cmp_eq_u32 s6, 0
	s_cselect_b32 s4, ttmp9, s5
	s_delay_alu instid0(SALU_CYCLE_1) | instskip(SKIP_1) | instid1(VALU_DEP_1)
	v_lshl_or_b32 v2, s4, 8, v0
	s_wait_kmcnt 0x0
	v_cmp_gt_u64_e32 vcc_lo, s[2:3], v[2:3]
	s_and_saveexec_b32 s3, vcc_lo
	s_cbranch_execz .LBB98_8
; %bb.1:
	s_load_b128 s[4:7], s[0:1], 0x8
	v_lshlrev_b64_e32 v[2:3], 3, v[2:3]
	s_mov_b32 s2, exec_lo
	s_wait_kmcnt 0x0
	s_delay_alu instid0(VALU_DEP_1)
	v_add_nc_u64_e32 v[4:5], s[4:5], v[2:3]
	v_add_nc_u64_e32 v[2:3], s[6:7], v[2:3]
	global_load_b64 v[6:7], v[4:5], off
	global_load_b64 v[8:9], v[2:3], off
                                        ; implicit-def: $vgpr3
	s_wait_loadcnt 0x0
	v_dual_sub_f32 v1, v6, v8 :: v_dual_sub_f32 v4, v7, v9
	s_delay_alu instid0(VALU_DEP_1) | instskip(SKIP_1) | instid1(VALU_DEP_3)
	v_cmp_gt_f32_e32 vcc_lo, 0, v1
	v_cndmask_b32_e64 v1, v1, -v1, vcc_lo
	v_cmp_gt_f32_e32 vcc_lo, 0, v4
	v_cndmask_b32_e64 v2, v4, -v4, vcc_lo
	s_delay_alu instid0(VALU_DEP_1)
	v_cmpx_ngt_f32_e32 v1, v2
	s_xor_b32 s4, exec_lo, s2
	s_cbranch_execz .LBB98_5
; %bb.2:
	v_mov_b32_e32 v3, 0
	s_mov_b32 s5, exec_lo
	v_cmpx_neq_f32_e32 0, v4
	s_cbranch_execz .LBB98_4
; %bb.3:
	v_div_scale_f32 v3, null, v2, v2, v1
	v_div_scale_f32 v6, vcc_lo, v1, v2, v1
	s_delay_alu instid0(VALU_DEP_2) | instskip(SKIP_1) | instid1(TRANS32_DEP_1)
	v_rcp_f32_e32 v4, v3
	v_nop
	v_fma_f32 v5, -v3, v4, 1.0
	s_delay_alu instid0(VALU_DEP_1) | instskip(NEXT) | instid1(VALU_DEP_1)
	v_fmac_f32_e32 v4, v5, v4
	v_mul_f32_e32 v5, v6, v4
	s_delay_alu instid0(VALU_DEP_1) | instskip(NEXT) | instid1(VALU_DEP_1)
	v_fma_f32 v7, -v3, v5, v6
	v_fmac_f32_e32 v5, v7, v4
	s_delay_alu instid0(VALU_DEP_1) | instskip(NEXT) | instid1(VALU_DEP_1)
	v_fma_f32 v3, -v3, v5, v6
	v_div_fmas_f32 v3, v3, v4, v5
	s_delay_alu instid0(VALU_DEP_1) | instskip(NEXT) | instid1(VALU_DEP_1)
	v_div_fixup_f32 v1, v3, v2, v1
	v_fma_f32 v1, v1, v1, 1.0
	s_delay_alu instid0(VALU_DEP_1) | instskip(SKIP_1) | instid1(VALU_DEP_2)
	v_mul_f32_e32 v3, 0x4f800000, v1
	v_cmp_gt_f32_e32 vcc_lo, 0xf800000, v1
	v_cndmask_b32_e32 v1, v1, v3, vcc_lo
	s_delay_alu instid0(VALU_DEP_1) | instskip(SKIP_1) | instid1(TRANS32_DEP_1)
	v_sqrt_f32_e32 v3, v1
	v_nop
	v_dual_add_nc_u32 v4, -1, v3 :: v_dual_add_nc_u32 v5, 1, v3
	s_delay_alu instid0(VALU_DEP_1) | instskip(NEXT) | instid1(VALU_DEP_1)
	v_fma_f32 v6, -v4, v3, v1
	v_cmp_ge_f32_e64 s2, 0, v6
	s_delay_alu instid0(VALU_DEP_1) | instskip(NEXT) | instid1(VALU_DEP_1)
	v_dual_fma_f32 v7, -v5, v3, v1 :: v_dual_cndmask_b32 v3, v3, v4, s2
	v_cmp_lt_f32_e64 s2, 0, v7
	s_delay_alu instid0(VALU_DEP_1) | instskip(NEXT) | instid1(VALU_DEP_1)
	v_cndmask_b32_e64 v3, v3, v5, s2
	v_mul_f32_e32 v4, 0x37800000, v3
	s_delay_alu instid0(VALU_DEP_1) | instskip(SKIP_1) | instid1(VALU_DEP_2)
	v_cndmask_b32_e32 v3, v3, v4, vcc_lo
	v_cmp_class_f32_e64 vcc_lo, v1, 0x260
	v_cndmask_b32_e32 v1, v3, v1, vcc_lo
	s_delay_alu instid0(VALU_DEP_1)
	v_mul_f32_e32 v3, v2, v1
.LBB98_4:
	s_or_b32 exec_lo, exec_lo, s5
                                        ; implicit-def: $vgpr1
                                        ; implicit-def: $vgpr2
.LBB98_5:
	s_and_not1_saveexec_b32 s4, s4
	s_cbranch_execz .LBB98_7
; %bb.6:
	v_div_scale_f32 v3, null, v1, v1, v2
	v_div_scale_f32 v6, vcc_lo, v2, v1, v2
	s_delay_alu instid0(VALU_DEP_2) | instskip(SKIP_1) | instid1(TRANS32_DEP_1)
	v_rcp_f32_e32 v4, v3
	v_nop
	v_fma_f32 v5, -v3, v4, 1.0
	s_delay_alu instid0(VALU_DEP_1) | instskip(NEXT) | instid1(VALU_DEP_1)
	v_fmac_f32_e32 v4, v5, v4
	v_mul_f32_e32 v5, v6, v4
	s_delay_alu instid0(VALU_DEP_1) | instskip(NEXT) | instid1(VALU_DEP_1)
	v_fma_f32 v7, -v3, v5, v6
	v_fmac_f32_e32 v5, v7, v4
	s_delay_alu instid0(VALU_DEP_1) | instskip(NEXT) | instid1(VALU_DEP_1)
	v_fma_f32 v3, -v3, v5, v6
	v_div_fmas_f32 v3, v3, v4, v5
	s_delay_alu instid0(VALU_DEP_1) | instskip(NEXT) | instid1(VALU_DEP_1)
	v_div_fixup_f32 v2, v3, v1, v2
	v_fma_f32 v2, v2, v2, 1.0
	s_delay_alu instid0(VALU_DEP_1) | instskip(SKIP_1) | instid1(VALU_DEP_2)
	v_mul_f32_e32 v3, 0x4f800000, v2
	v_cmp_gt_f32_e32 vcc_lo, 0xf800000, v2
	v_cndmask_b32_e32 v2, v2, v3, vcc_lo
	s_delay_alu instid0(VALU_DEP_1) | instskip(SKIP_1) | instid1(TRANS32_DEP_1)
	v_sqrt_f32_e32 v3, v2
	v_nop
	v_dual_add_nc_u32 v4, -1, v3 :: v_dual_add_nc_u32 v5, 1, v3
	s_delay_alu instid0(VALU_DEP_1) | instskip(NEXT) | instid1(VALU_DEP_1)
	v_fma_f32 v6, -v4, v3, v2
	v_cmp_ge_f32_e64 s2, 0, v6
	s_delay_alu instid0(VALU_DEP_1) | instskip(NEXT) | instid1(VALU_DEP_1)
	v_dual_fma_f32 v7, -v5, v3, v2 :: v_dual_cndmask_b32 v3, v3, v4, s2
	v_cmp_lt_f32_e64 s2, 0, v7
	s_delay_alu instid0(VALU_DEP_1) | instskip(NEXT) | instid1(VALU_DEP_1)
	v_cndmask_b32_e64 v3, v3, v5, s2
	v_mul_f32_e32 v4, 0x37800000, v3
	s_delay_alu instid0(VALU_DEP_1) | instskip(SKIP_1) | instid1(VALU_DEP_2)
	v_cndmask_b32_e32 v3, v3, v4, vcc_lo
	v_cmp_class_f32_e64 vcc_lo, v2, 0x260
	v_cndmask_b32_e32 v2, v3, v2, vcc_lo
	s_delay_alu instid0(VALU_DEP_1)
	v_mul_f32_e32 v3, v1, v2
.LBB98_7:
	s_or_b32 exec_lo, exec_lo, s4
.LBB98_8:
	s_delay_alu instid0(SALU_CYCLE_1)
	s_or_b32 exec_lo, exec_lo, s3
	v_lshlrev_b32_e32 v1, 2, v0
	s_mov_b32 s2, exec_lo
	ds_store_b32 v1, v3
	s_wait_dscnt 0x0
	s_barrier_signal -1
	s_barrier_wait -1
	v_cmpx_gt_u32_e32 0x80, v0
	s_cbranch_execz .LBB98_10
; %bb.9:
	ds_load_2addr_stride64_b32 v[2:3], v1 offset1:2
	s_wait_dscnt 0x0
	v_cmp_lt_f32_e32 vcc_lo, v2, v3
	v_cndmask_b32_e32 v2, v2, v3, vcc_lo
	ds_store_b32 v1, v2
.LBB98_10:
	s_or_b32 exec_lo, exec_lo, s2
	s_delay_alu instid0(SALU_CYCLE_1)
	s_mov_b32 s2, exec_lo
	s_wait_dscnt 0x0
	s_barrier_signal -1
	s_barrier_wait -1
	v_cmpx_gt_u32_e32 64, v0
	s_cbranch_execz .LBB98_12
; %bb.11:
	ds_load_2addr_stride64_b32 v[2:3], v1 offset1:1
	s_wait_dscnt 0x0
	v_cmp_lt_f32_e32 vcc_lo, v2, v3
	v_cndmask_b32_e32 v2, v2, v3, vcc_lo
	ds_store_b32 v1, v2
.LBB98_12:
	s_or_b32 exec_lo, exec_lo, s2
	s_delay_alu instid0(SALU_CYCLE_1)
	s_mov_b32 s2, exec_lo
	s_wait_dscnt 0x0
	s_barrier_signal -1
	s_barrier_wait -1
	v_cmpx_gt_u32_e32 32, v0
	s_cbranch_execz .LBB98_14
; %bb.13:
	ds_load_2addr_b32 v[2:3], v1 offset1:32
	s_wait_dscnt 0x0
	v_cmp_lt_f32_e32 vcc_lo, v2, v3
	v_cndmask_b32_e32 v2, v2, v3, vcc_lo
	ds_store_b32 v1, v2
.LBB98_14:
	s_or_b32 exec_lo, exec_lo, s2
	s_delay_alu instid0(SALU_CYCLE_1)
	s_mov_b32 s2, exec_lo
	s_wait_dscnt 0x0
	s_barrier_signal -1
	s_barrier_wait -1
	v_cmpx_gt_u32_e32 16, v0
	s_cbranch_execz .LBB98_16
; %bb.15:
	ds_load_2addr_b32 v[2:3], v1 offset1:16
	s_wait_dscnt 0x0
	v_cmp_lt_f32_e32 vcc_lo, v2, v3
	v_cndmask_b32_e32 v2, v2, v3, vcc_lo
	ds_store_b32 v1, v2
.LBB98_16:
	s_or_b32 exec_lo, exec_lo, s2
	s_delay_alu instid0(SALU_CYCLE_1)
	s_mov_b32 s2, exec_lo
	s_wait_dscnt 0x0
	s_barrier_signal -1
	s_barrier_wait -1
	v_cmpx_gt_u32_e32 8, v0
	s_cbranch_execz .LBB98_18
; %bb.17:
	ds_load_2addr_b32 v[2:3], v1 offset1:8
	s_wait_dscnt 0x0
	v_cmp_lt_f32_e32 vcc_lo, v2, v3
	v_cndmask_b32_e32 v2, v2, v3, vcc_lo
	ds_store_b32 v1, v2
.LBB98_18:
	s_or_b32 exec_lo, exec_lo, s2
	s_delay_alu instid0(SALU_CYCLE_1)
	s_mov_b32 s2, exec_lo
	s_wait_dscnt 0x0
	s_barrier_signal -1
	s_barrier_wait -1
	v_cmpx_gt_u32_e32 4, v0
	s_cbranch_execz .LBB98_20
; %bb.19:
	ds_load_2addr_b32 v[2:3], v1 offset1:4
	s_wait_dscnt 0x0
	v_cmp_lt_f32_e32 vcc_lo, v2, v3
	v_cndmask_b32_e32 v2, v2, v3, vcc_lo
	ds_store_b32 v1, v2
.LBB98_20:
	s_or_b32 exec_lo, exec_lo, s2
	s_delay_alu instid0(SALU_CYCLE_1)
	s_mov_b32 s2, exec_lo
	s_wait_dscnt 0x0
	s_barrier_signal -1
	s_barrier_wait -1
	v_cmpx_gt_u32_e32 2, v0
	s_cbranch_execz .LBB98_22
; %bb.21:
	ds_load_2addr_b32 v[2:3], v1 offset1:2
	s_wait_dscnt 0x0
	v_cmp_lt_f32_e32 vcc_lo, v2, v3
	v_cndmask_b32_e32 v2, v2, v3, vcc_lo
	ds_store_b32 v1, v2
.LBB98_22:
	s_or_b32 exec_lo, exec_lo, s2
	v_cmp_eq_u32_e32 vcc_lo, 0, v0
	s_wait_dscnt 0x0
	s_barrier_signal -1
	s_barrier_wait -1
	s_and_saveexec_b32 s3, vcc_lo
	s_cbranch_execz .LBB98_24
; %bb.23:
	v_mov_b32_e32 v2, 0
	ds_load_b64 v[0:1], v2
	s_wait_dscnt 0x0
	v_cmp_lt_f32_e64 s2, v0, v1
	s_delay_alu instid0(VALU_DEP_1)
	v_cndmask_b32_e64 v0, v0, v1, s2
	ds_store_b32 v2, v0
.LBB98_24:
	s_or_b32 exec_lo, exec_lo, s3
	s_wait_dscnt 0x0
	s_barrier_signal -1
	s_barrier_wait -1
	s_and_saveexec_b32 s2, vcc_lo
	s_cbranch_execz .LBB98_29
; %bb.25:
	v_mov_b32_e32 v0, 0
	s_load_b64 s[2:3], s[0:1], 0x20
	ds_load_b32 v0, v0
	s_wait_kmcnt 0x0
	s_cmp_eq_u64 s[2:3], 0
	s_cbranch_scc1 .LBB98_27
; %bb.26:
	s_load_b32 s2, s[2:3], 0x0
	s_wait_dscnt 0x0
	s_wait_kmcnt 0x0
	v_div_scale_f32 v1, null, s2, s2, v0
	s_delay_alu instid0(VALU_DEP_1)
	v_rcp_f32_e32 v2, v1
	v_nop
	v_xor_b32_e32 v1, 0x80000000, v1
	s_delay_alu instid0(TRANS32_DEP_1) | instid1(VALU_DEP_1)
	v_fma_f32 v3, v1, v2, 1.0
	s_delay_alu instid0(VALU_DEP_1) | instskip(SKIP_1) | instid1(VALU_DEP_1)
	v_fmac_f32_e32 v2, v3, v2
	v_div_scale_f32 v3, vcc_lo, v0, s2, v0
	v_mul_f32_e32 v4, v3, v2
	s_delay_alu instid0(VALU_DEP_1) | instskip(NEXT) | instid1(VALU_DEP_1)
	v_fma_f32 v5, v1, v4, v3
	v_fmac_f32_e32 v4, v5, v2
	s_delay_alu instid0(VALU_DEP_1) | instskip(NEXT) | instid1(VALU_DEP_1)
	v_fmac_f32_e32 v3, v1, v4
	v_div_fmas_f32 v1, v3, v2, v4
	s_delay_alu instid0(VALU_DEP_1)
	v_div_fixup_f32 v0, v1, s2, v0
.LBB98_27:
	v_mbcnt_lo_u32_b32 v1, exec_lo, 0
	s_delay_alu instid0(VALU_DEP_1)
	v_cmp_eq_u32_e32 vcc_lo, 0, v1
	s_and_b32 exec_lo, exec_lo, vcc_lo
	s_cbranch_execz .LBB98_29
; %bb.28:
	s_load_b64 s[0:1], s[0:1], 0x18
	v_mov_b32_e32 v1, 0
	s_wait_xcnt 0x0
	s_wait_dscnt 0x0
	s_wait_kmcnt 0x0
	global_atomic_max_num_f32 v1, v0, s[0:1] scope:SCOPE_DEV
.LBB98_29:
	s_endpgm
	.section	.rodata,"a",@progbits
	.p2align	6, 0x0
	.amdhsa_kernel _ZN9rocsparseL18kernel_nrminf_diffILj256E21rocsparse_complex_numIfEEEvmPKT0_S5_PNS_15floating_traitsIS3_E6data_tEPKS8_
		.amdhsa_group_segment_fixed_size 1024
		.amdhsa_private_segment_fixed_size 0
		.amdhsa_kernarg_size 40
		.amdhsa_user_sgpr_count 2
		.amdhsa_user_sgpr_dispatch_ptr 0
		.amdhsa_user_sgpr_queue_ptr 0
		.amdhsa_user_sgpr_kernarg_segment_ptr 1
		.amdhsa_user_sgpr_dispatch_id 0
		.amdhsa_user_sgpr_kernarg_preload_length 0
		.amdhsa_user_sgpr_kernarg_preload_offset 0
		.amdhsa_user_sgpr_private_segment_size 0
		.amdhsa_wavefront_size32 1
		.amdhsa_uses_dynamic_stack 0
		.amdhsa_enable_private_segment 0
		.amdhsa_system_sgpr_workgroup_id_x 1
		.amdhsa_system_sgpr_workgroup_id_y 0
		.amdhsa_system_sgpr_workgroup_id_z 0
		.amdhsa_system_sgpr_workgroup_info 0
		.amdhsa_system_vgpr_workitem_id 0
		.amdhsa_next_free_vgpr 10
		.amdhsa_next_free_sgpr 8
		.amdhsa_named_barrier_count 0
		.amdhsa_reserve_vcc 1
		.amdhsa_float_round_mode_32 0
		.amdhsa_float_round_mode_16_64 0
		.amdhsa_float_denorm_mode_32 3
		.amdhsa_float_denorm_mode_16_64 3
		.amdhsa_fp16_overflow 0
		.amdhsa_memory_ordered 1
		.amdhsa_forward_progress 1
		.amdhsa_inst_pref_size 12
		.amdhsa_round_robin_scheduling 0
		.amdhsa_exception_fp_ieee_invalid_op 0
		.amdhsa_exception_fp_denorm_src 0
		.amdhsa_exception_fp_ieee_div_zero 0
		.amdhsa_exception_fp_ieee_overflow 0
		.amdhsa_exception_fp_ieee_underflow 0
		.amdhsa_exception_fp_ieee_inexact 0
		.amdhsa_exception_int_div_zero 0
	.end_amdhsa_kernel
	.section	.text._ZN9rocsparseL18kernel_nrminf_diffILj256E21rocsparse_complex_numIfEEEvmPKT0_S5_PNS_15floating_traitsIS3_E6data_tEPKS8_,"axG",@progbits,_ZN9rocsparseL18kernel_nrminf_diffILj256E21rocsparse_complex_numIfEEEvmPKT0_S5_PNS_15floating_traitsIS3_E6data_tEPKS8_,comdat
.Lfunc_end98:
	.size	_ZN9rocsparseL18kernel_nrminf_diffILj256E21rocsparse_complex_numIfEEEvmPKT0_S5_PNS_15floating_traitsIS3_E6data_tEPKS8_, .Lfunc_end98-_ZN9rocsparseL18kernel_nrminf_diffILj256E21rocsparse_complex_numIfEEEvmPKT0_S5_PNS_15floating_traitsIS3_E6data_tEPKS8_
                                        ; -- End function
	.set _ZN9rocsparseL18kernel_nrminf_diffILj256E21rocsparse_complex_numIfEEEvmPKT0_S5_PNS_15floating_traitsIS3_E6data_tEPKS8_.num_vgpr, 10
	.set _ZN9rocsparseL18kernel_nrminf_diffILj256E21rocsparse_complex_numIfEEEvmPKT0_S5_PNS_15floating_traitsIS3_E6data_tEPKS8_.num_agpr, 0
	.set _ZN9rocsparseL18kernel_nrminf_diffILj256E21rocsparse_complex_numIfEEEvmPKT0_S5_PNS_15floating_traitsIS3_E6data_tEPKS8_.numbered_sgpr, 8
	.set _ZN9rocsparseL18kernel_nrminf_diffILj256E21rocsparse_complex_numIfEEEvmPKT0_S5_PNS_15floating_traitsIS3_E6data_tEPKS8_.num_named_barrier, 0
	.set _ZN9rocsparseL18kernel_nrminf_diffILj256E21rocsparse_complex_numIfEEEvmPKT0_S5_PNS_15floating_traitsIS3_E6data_tEPKS8_.private_seg_size, 0
	.set _ZN9rocsparseL18kernel_nrminf_diffILj256E21rocsparse_complex_numIfEEEvmPKT0_S5_PNS_15floating_traitsIS3_E6data_tEPKS8_.uses_vcc, 1
	.set _ZN9rocsparseL18kernel_nrminf_diffILj256E21rocsparse_complex_numIfEEEvmPKT0_S5_PNS_15floating_traitsIS3_E6data_tEPKS8_.uses_flat_scratch, 0
	.set _ZN9rocsparseL18kernel_nrminf_diffILj256E21rocsparse_complex_numIfEEEvmPKT0_S5_PNS_15floating_traitsIS3_E6data_tEPKS8_.has_dyn_sized_stack, 0
	.set _ZN9rocsparseL18kernel_nrminf_diffILj256E21rocsparse_complex_numIfEEEvmPKT0_S5_PNS_15floating_traitsIS3_E6data_tEPKS8_.has_recursion, 0
	.set _ZN9rocsparseL18kernel_nrminf_diffILj256E21rocsparse_complex_numIfEEEvmPKT0_S5_PNS_15floating_traitsIS3_E6data_tEPKS8_.has_indirect_call, 0
	.section	.AMDGPU.csdata,"",@progbits
; Kernel info:
; codeLenInByte = 1464
; TotalNumSgprs: 10
; NumVgprs: 10
; ScratchSize: 0
; MemoryBound: 0
; FloatMode: 240
; IeeeMode: 1
; LDSByteSize: 1024 bytes/workgroup (compile time only)
; SGPRBlocks: 0
; VGPRBlocks: 0
; NumSGPRsForWavesPerEU: 10
; NumVGPRsForWavesPerEU: 10
; NamedBarCnt: 0
; Occupancy: 16
; WaveLimiterHint : 0
; COMPUTE_PGM_RSRC2:SCRATCH_EN: 0
; COMPUTE_PGM_RSRC2:USER_SGPR: 2
; COMPUTE_PGM_RSRC2:TRAP_HANDLER: 0
; COMPUTE_PGM_RSRC2:TGID_X_EN: 1
; COMPUTE_PGM_RSRC2:TGID_Y_EN: 0
; COMPUTE_PGM_RSRC2:TGID_Z_EN: 0
; COMPUTE_PGM_RSRC2:TIDIG_COMP_CNT: 0
	.section	.text._ZN9rocsparseL13kernel_nrminfILj256E21rocsparse_complex_numIfEEEvmPKT0_PNS_15floating_traitsIS3_E6data_tEPKS8_,"axG",@progbits,_ZN9rocsparseL13kernel_nrminfILj256E21rocsparse_complex_numIfEEEvmPKT0_PNS_15floating_traitsIS3_E6data_tEPKS8_,comdat
	.globl	_ZN9rocsparseL13kernel_nrminfILj256E21rocsparse_complex_numIfEEEvmPKT0_PNS_15floating_traitsIS3_E6data_tEPKS8_ ; -- Begin function _ZN9rocsparseL13kernel_nrminfILj256E21rocsparse_complex_numIfEEEvmPKT0_PNS_15floating_traitsIS3_E6data_tEPKS8_
	.p2align	8
	.type	_ZN9rocsparseL13kernel_nrminfILj256E21rocsparse_complex_numIfEEEvmPKT0_PNS_15floating_traitsIS3_E6data_tEPKS8_,@function
_ZN9rocsparseL13kernel_nrminfILj256E21rocsparse_complex_numIfEEEvmPKT0_PNS_15floating_traitsIS3_E6data_tEPKS8_: ; @_ZN9rocsparseL13kernel_nrminfILj256E21rocsparse_complex_numIfEEEvmPKT0_PNS_15floating_traitsIS3_E6data_tEPKS8_
; %bb.0:
	s_load_b64 s[2:3], s[0:1], 0x0
	s_bfe_u32 s4, ttmp6, 0x4000c
	s_and_b32 s5, ttmp6, 15
	s_add_co_i32 s4, s4, 1
	s_getreg_b32 s6, hwreg(HW_REG_IB_STS2, 6, 4)
	s_mul_i32 s4, ttmp9, s4
	v_mov_b32_e32 v3, 0
	s_add_co_i32 s5, s5, s4
	s_cmp_eq_u32 s6, 0
	s_cselect_b32 s4, ttmp9, s5
	s_delay_alu instid0(SALU_CYCLE_1) | instskip(SKIP_1) | instid1(VALU_DEP_1)
	v_lshl_or_b32 v2, s4, 8, v0
	s_wait_kmcnt 0x0
	v_cmp_gt_u64_e32 vcc_lo, s[2:3], v[2:3]
	s_and_saveexec_b32 s3, vcc_lo
	s_cbranch_execz .LBB99_8
; %bb.1:
	s_load_b64 s[4:5], s[0:1], 0x8
	s_mov_b32 s2, exec_lo
	s_wait_kmcnt 0x0
	v_lshl_add_u64 v[2:3], v[2:3], 3, s[4:5]
	global_load_b64 v[4:5], v[2:3], off
                                        ; implicit-def: $vgpr3
	s_wait_loadcnt 0x0
	v_cmp_gt_f32_e32 vcc_lo, 0, v4
	v_cndmask_b32_e64 v1, v4, -v4, vcc_lo
	v_cmp_gt_f32_e32 vcc_lo, 0, v5
	v_cndmask_b32_e64 v2, v5, -v5, vcc_lo
	s_delay_alu instid0(VALU_DEP_1)
	v_cmpx_ngt_f32_e32 v1, v2
	s_xor_b32 s4, exec_lo, s2
	s_cbranch_execz .LBB99_5
; %bb.2:
	v_mov_b32_e32 v3, 0
	s_mov_b32 s5, exec_lo
	v_cmpx_neq_f32_e32 0, v5
	s_cbranch_execz .LBB99_4
; %bb.3:
	v_div_scale_f32 v3, null, v2, v2, v1
	v_div_scale_f32 v6, vcc_lo, v1, v2, v1
	s_delay_alu instid0(VALU_DEP_2) | instskip(SKIP_1) | instid1(TRANS32_DEP_1)
	v_rcp_f32_e32 v4, v3
	v_nop
	v_fma_f32 v5, -v3, v4, 1.0
	s_delay_alu instid0(VALU_DEP_1) | instskip(NEXT) | instid1(VALU_DEP_1)
	v_fmac_f32_e32 v4, v5, v4
	v_mul_f32_e32 v5, v6, v4
	s_delay_alu instid0(VALU_DEP_1) | instskip(NEXT) | instid1(VALU_DEP_1)
	v_fma_f32 v7, -v3, v5, v6
	v_fmac_f32_e32 v5, v7, v4
	s_delay_alu instid0(VALU_DEP_1) | instskip(NEXT) | instid1(VALU_DEP_1)
	v_fma_f32 v3, -v3, v5, v6
	v_div_fmas_f32 v3, v3, v4, v5
	s_delay_alu instid0(VALU_DEP_1) | instskip(NEXT) | instid1(VALU_DEP_1)
	v_div_fixup_f32 v1, v3, v2, v1
	v_fma_f32 v1, v1, v1, 1.0
	s_delay_alu instid0(VALU_DEP_1) | instskip(SKIP_1) | instid1(VALU_DEP_2)
	v_mul_f32_e32 v3, 0x4f800000, v1
	v_cmp_gt_f32_e32 vcc_lo, 0xf800000, v1
	v_cndmask_b32_e32 v1, v1, v3, vcc_lo
	s_delay_alu instid0(VALU_DEP_1) | instskip(SKIP_1) | instid1(TRANS32_DEP_1)
	v_sqrt_f32_e32 v3, v1
	v_nop
	v_dual_add_nc_u32 v4, -1, v3 :: v_dual_add_nc_u32 v5, 1, v3
	s_delay_alu instid0(VALU_DEP_1) | instskip(NEXT) | instid1(VALU_DEP_1)
	v_fma_f32 v6, -v4, v3, v1
	v_cmp_ge_f32_e64 s2, 0, v6
	s_delay_alu instid0(VALU_DEP_1) | instskip(NEXT) | instid1(VALU_DEP_1)
	v_dual_fma_f32 v7, -v5, v3, v1 :: v_dual_cndmask_b32 v3, v3, v4, s2
	v_cmp_lt_f32_e64 s2, 0, v7
	s_delay_alu instid0(VALU_DEP_1) | instskip(NEXT) | instid1(VALU_DEP_1)
	v_cndmask_b32_e64 v3, v3, v5, s2
	v_mul_f32_e32 v4, 0x37800000, v3
	s_delay_alu instid0(VALU_DEP_1) | instskip(SKIP_1) | instid1(VALU_DEP_2)
	v_cndmask_b32_e32 v3, v3, v4, vcc_lo
	v_cmp_class_f32_e64 vcc_lo, v1, 0x260
	v_cndmask_b32_e32 v1, v3, v1, vcc_lo
	s_delay_alu instid0(VALU_DEP_1)
	v_mul_f32_e32 v3, v2, v1
.LBB99_4:
	s_or_b32 exec_lo, exec_lo, s5
                                        ; implicit-def: $vgpr1
                                        ; implicit-def: $vgpr2
.LBB99_5:
	s_and_not1_saveexec_b32 s4, s4
	s_cbranch_execz .LBB99_7
; %bb.6:
	v_div_scale_f32 v3, null, v1, v1, v2
	v_div_scale_f32 v6, vcc_lo, v2, v1, v2
	s_delay_alu instid0(VALU_DEP_2) | instskip(SKIP_1) | instid1(TRANS32_DEP_1)
	v_rcp_f32_e32 v4, v3
	v_nop
	v_fma_f32 v5, -v3, v4, 1.0
	s_delay_alu instid0(VALU_DEP_1) | instskip(NEXT) | instid1(VALU_DEP_1)
	v_fmac_f32_e32 v4, v5, v4
	v_mul_f32_e32 v5, v6, v4
	s_delay_alu instid0(VALU_DEP_1) | instskip(NEXT) | instid1(VALU_DEP_1)
	v_fma_f32 v7, -v3, v5, v6
	v_fmac_f32_e32 v5, v7, v4
	s_delay_alu instid0(VALU_DEP_1) | instskip(NEXT) | instid1(VALU_DEP_1)
	v_fma_f32 v3, -v3, v5, v6
	v_div_fmas_f32 v3, v3, v4, v5
	s_delay_alu instid0(VALU_DEP_1) | instskip(NEXT) | instid1(VALU_DEP_1)
	v_div_fixup_f32 v2, v3, v1, v2
	v_fma_f32 v2, v2, v2, 1.0
	s_delay_alu instid0(VALU_DEP_1) | instskip(SKIP_1) | instid1(VALU_DEP_2)
	v_mul_f32_e32 v3, 0x4f800000, v2
	v_cmp_gt_f32_e32 vcc_lo, 0xf800000, v2
	v_cndmask_b32_e32 v2, v2, v3, vcc_lo
	s_delay_alu instid0(VALU_DEP_1) | instskip(SKIP_1) | instid1(TRANS32_DEP_1)
	v_sqrt_f32_e32 v3, v2
	v_nop
	v_dual_add_nc_u32 v4, -1, v3 :: v_dual_add_nc_u32 v5, 1, v3
	s_delay_alu instid0(VALU_DEP_1) | instskip(NEXT) | instid1(VALU_DEP_1)
	v_fma_f32 v6, -v4, v3, v2
	v_cmp_ge_f32_e64 s2, 0, v6
	s_delay_alu instid0(VALU_DEP_1) | instskip(NEXT) | instid1(VALU_DEP_1)
	v_dual_fma_f32 v7, -v5, v3, v2 :: v_dual_cndmask_b32 v3, v3, v4, s2
	v_cmp_lt_f32_e64 s2, 0, v7
	s_delay_alu instid0(VALU_DEP_1) | instskip(NEXT) | instid1(VALU_DEP_1)
	v_cndmask_b32_e64 v3, v3, v5, s2
	v_mul_f32_e32 v4, 0x37800000, v3
	s_delay_alu instid0(VALU_DEP_1) | instskip(SKIP_1) | instid1(VALU_DEP_2)
	v_cndmask_b32_e32 v3, v3, v4, vcc_lo
	v_cmp_class_f32_e64 vcc_lo, v2, 0x260
	v_cndmask_b32_e32 v2, v3, v2, vcc_lo
	s_delay_alu instid0(VALU_DEP_1)
	v_mul_f32_e32 v3, v1, v2
.LBB99_7:
	s_or_b32 exec_lo, exec_lo, s4
.LBB99_8:
	s_delay_alu instid0(SALU_CYCLE_1)
	s_or_b32 exec_lo, exec_lo, s3
	v_lshlrev_b32_e32 v1, 2, v0
	s_mov_b32 s2, exec_lo
	ds_store_b32 v1, v3
	s_wait_dscnt 0x0
	s_barrier_signal -1
	s_barrier_wait -1
	v_cmpx_gt_u32_e32 0x80, v0
	s_cbranch_execz .LBB99_10
; %bb.9:
	ds_load_2addr_stride64_b32 v[2:3], v1 offset1:2
	s_wait_dscnt 0x0
	v_cmp_lt_f32_e32 vcc_lo, v2, v3
	v_cndmask_b32_e32 v2, v2, v3, vcc_lo
	ds_store_b32 v1, v2
.LBB99_10:
	s_or_b32 exec_lo, exec_lo, s2
	s_delay_alu instid0(SALU_CYCLE_1)
	s_mov_b32 s2, exec_lo
	s_wait_dscnt 0x0
	s_barrier_signal -1
	s_barrier_wait -1
	v_cmpx_gt_u32_e32 64, v0
	s_cbranch_execz .LBB99_12
; %bb.11:
	ds_load_2addr_stride64_b32 v[2:3], v1 offset1:1
	s_wait_dscnt 0x0
	v_cmp_lt_f32_e32 vcc_lo, v2, v3
	v_cndmask_b32_e32 v2, v2, v3, vcc_lo
	ds_store_b32 v1, v2
.LBB99_12:
	s_or_b32 exec_lo, exec_lo, s2
	s_delay_alu instid0(SALU_CYCLE_1)
	s_mov_b32 s2, exec_lo
	s_wait_dscnt 0x0
	s_barrier_signal -1
	s_barrier_wait -1
	v_cmpx_gt_u32_e32 32, v0
	s_cbranch_execz .LBB99_14
; %bb.13:
	ds_load_2addr_b32 v[2:3], v1 offset1:32
	s_wait_dscnt 0x0
	v_cmp_lt_f32_e32 vcc_lo, v2, v3
	v_cndmask_b32_e32 v2, v2, v3, vcc_lo
	ds_store_b32 v1, v2
.LBB99_14:
	s_or_b32 exec_lo, exec_lo, s2
	s_delay_alu instid0(SALU_CYCLE_1)
	s_mov_b32 s2, exec_lo
	s_wait_dscnt 0x0
	s_barrier_signal -1
	s_barrier_wait -1
	v_cmpx_gt_u32_e32 16, v0
	s_cbranch_execz .LBB99_16
; %bb.15:
	ds_load_2addr_b32 v[2:3], v1 offset1:16
	s_wait_dscnt 0x0
	v_cmp_lt_f32_e32 vcc_lo, v2, v3
	v_cndmask_b32_e32 v2, v2, v3, vcc_lo
	ds_store_b32 v1, v2
.LBB99_16:
	;; [unrolled: 15-line block ×5, first 2 shown]
	s_or_b32 exec_lo, exec_lo, s2
	v_cmp_eq_u32_e32 vcc_lo, 0, v0
	s_wait_dscnt 0x0
	s_barrier_signal -1
	s_barrier_wait -1
	s_and_saveexec_b32 s3, vcc_lo
	s_cbranch_execz .LBB99_24
; %bb.23:
	v_mov_b32_e32 v2, 0
	ds_load_b64 v[0:1], v2
	s_wait_dscnt 0x0
	v_cmp_lt_f32_e64 s2, v0, v1
	s_delay_alu instid0(VALU_DEP_1)
	v_cndmask_b32_e64 v0, v0, v1, s2
	ds_store_b32 v2, v0
.LBB99_24:
	s_or_b32 exec_lo, exec_lo, s3
	s_wait_dscnt 0x0
	s_barrier_signal -1
	s_barrier_wait -1
	s_and_saveexec_b32 s2, vcc_lo
	s_cbranch_execz .LBB99_29
; %bb.25:
	v_mov_b32_e32 v0, 0
	s_load_b64 s[2:3], s[0:1], 0x18
	ds_load_b32 v0, v0
	s_wait_kmcnt 0x0
	s_cmp_eq_u64 s[2:3], 0
	s_cbranch_scc1 .LBB99_27
; %bb.26:
	s_load_b32 s2, s[2:3], 0x0
	s_wait_dscnt 0x0
	s_wait_kmcnt 0x0
	v_div_scale_f32 v1, null, s2, s2, v0
	s_delay_alu instid0(VALU_DEP_1)
	v_rcp_f32_e32 v2, v1
	v_nop
	v_xor_b32_e32 v1, 0x80000000, v1
	s_delay_alu instid0(TRANS32_DEP_1) | instid1(VALU_DEP_1)
	v_fma_f32 v3, v1, v2, 1.0
	s_delay_alu instid0(VALU_DEP_1) | instskip(SKIP_1) | instid1(VALU_DEP_1)
	v_fmac_f32_e32 v2, v3, v2
	v_div_scale_f32 v3, vcc_lo, v0, s2, v0
	v_mul_f32_e32 v4, v3, v2
	s_delay_alu instid0(VALU_DEP_1) | instskip(NEXT) | instid1(VALU_DEP_1)
	v_fma_f32 v5, v1, v4, v3
	v_fmac_f32_e32 v4, v5, v2
	s_delay_alu instid0(VALU_DEP_1) | instskip(NEXT) | instid1(VALU_DEP_1)
	v_fmac_f32_e32 v3, v1, v4
	v_div_fmas_f32 v1, v3, v2, v4
	s_delay_alu instid0(VALU_DEP_1)
	v_div_fixup_f32 v0, v1, s2, v0
.LBB99_27:
	v_mbcnt_lo_u32_b32 v1, exec_lo, 0
	s_delay_alu instid0(VALU_DEP_1)
	v_cmp_eq_u32_e32 vcc_lo, 0, v1
	s_and_b32 exec_lo, exec_lo, vcc_lo
	s_cbranch_execz .LBB99_29
; %bb.28:
	s_load_b64 s[0:1], s[0:1], 0x10
	v_mov_b32_e32 v1, 0
	s_wait_xcnt 0x0
	s_wait_dscnt 0x0
	s_wait_kmcnt 0x0
	global_atomic_max_num_f32 v1, v0, s[0:1] scope:SCOPE_DEV
.LBB99_29:
	s_endpgm
	.section	.rodata,"a",@progbits
	.p2align	6, 0x0
	.amdhsa_kernel _ZN9rocsparseL13kernel_nrminfILj256E21rocsparse_complex_numIfEEEvmPKT0_PNS_15floating_traitsIS3_E6data_tEPKS8_
		.amdhsa_group_segment_fixed_size 1024
		.amdhsa_private_segment_fixed_size 0
		.amdhsa_kernarg_size 32
		.amdhsa_user_sgpr_count 2
		.amdhsa_user_sgpr_dispatch_ptr 0
		.amdhsa_user_sgpr_queue_ptr 0
		.amdhsa_user_sgpr_kernarg_segment_ptr 1
		.amdhsa_user_sgpr_dispatch_id 0
		.amdhsa_user_sgpr_kernarg_preload_length 0
		.amdhsa_user_sgpr_kernarg_preload_offset 0
		.amdhsa_user_sgpr_private_segment_size 0
		.amdhsa_wavefront_size32 1
		.amdhsa_uses_dynamic_stack 0
		.amdhsa_enable_private_segment 0
		.amdhsa_system_sgpr_workgroup_id_x 1
		.amdhsa_system_sgpr_workgroup_id_y 0
		.amdhsa_system_sgpr_workgroup_id_z 0
		.amdhsa_system_sgpr_workgroup_info 0
		.amdhsa_system_vgpr_workitem_id 0
		.amdhsa_next_free_vgpr 8
		.amdhsa_next_free_sgpr 7
		.amdhsa_named_barrier_count 0
		.amdhsa_reserve_vcc 1
		.amdhsa_float_round_mode_32 0
		.amdhsa_float_round_mode_16_64 0
		.amdhsa_float_denorm_mode_32 3
		.amdhsa_float_denorm_mode_16_64 3
		.amdhsa_fp16_overflow 0
		.amdhsa_memory_ordered 1
		.amdhsa_forward_progress 1
		.amdhsa_inst_pref_size 12
		.amdhsa_round_robin_scheduling 0
		.amdhsa_exception_fp_ieee_invalid_op 0
		.amdhsa_exception_fp_denorm_src 0
		.amdhsa_exception_fp_ieee_div_zero 0
		.amdhsa_exception_fp_ieee_overflow 0
		.amdhsa_exception_fp_ieee_underflow 0
		.amdhsa_exception_fp_ieee_inexact 0
		.amdhsa_exception_int_div_zero 0
	.end_amdhsa_kernel
	.section	.text._ZN9rocsparseL13kernel_nrminfILj256E21rocsparse_complex_numIfEEEvmPKT0_PNS_15floating_traitsIS3_E6data_tEPKS8_,"axG",@progbits,_ZN9rocsparseL13kernel_nrminfILj256E21rocsparse_complex_numIfEEEvmPKT0_PNS_15floating_traitsIS3_E6data_tEPKS8_,comdat
.Lfunc_end99:
	.size	_ZN9rocsparseL13kernel_nrminfILj256E21rocsparse_complex_numIfEEEvmPKT0_PNS_15floating_traitsIS3_E6data_tEPKS8_, .Lfunc_end99-_ZN9rocsparseL13kernel_nrminfILj256E21rocsparse_complex_numIfEEEvmPKT0_PNS_15floating_traitsIS3_E6data_tEPKS8_
                                        ; -- End function
	.set _ZN9rocsparseL13kernel_nrminfILj256E21rocsparse_complex_numIfEEEvmPKT0_PNS_15floating_traitsIS3_E6data_tEPKS8_.num_vgpr, 8
	.set _ZN9rocsparseL13kernel_nrminfILj256E21rocsparse_complex_numIfEEEvmPKT0_PNS_15floating_traitsIS3_E6data_tEPKS8_.num_agpr, 0
	.set _ZN9rocsparseL13kernel_nrminfILj256E21rocsparse_complex_numIfEEEvmPKT0_PNS_15floating_traitsIS3_E6data_tEPKS8_.numbered_sgpr, 7
	.set _ZN9rocsparseL13kernel_nrminfILj256E21rocsparse_complex_numIfEEEvmPKT0_PNS_15floating_traitsIS3_E6data_tEPKS8_.num_named_barrier, 0
	.set _ZN9rocsparseL13kernel_nrminfILj256E21rocsparse_complex_numIfEEEvmPKT0_PNS_15floating_traitsIS3_E6data_tEPKS8_.private_seg_size, 0
	.set _ZN9rocsparseL13kernel_nrminfILj256E21rocsparse_complex_numIfEEEvmPKT0_PNS_15floating_traitsIS3_E6data_tEPKS8_.uses_vcc, 1
	.set _ZN9rocsparseL13kernel_nrminfILj256E21rocsparse_complex_numIfEEEvmPKT0_PNS_15floating_traitsIS3_E6data_tEPKS8_.uses_flat_scratch, 0
	.set _ZN9rocsparseL13kernel_nrminfILj256E21rocsparse_complex_numIfEEEvmPKT0_PNS_15floating_traitsIS3_E6data_tEPKS8_.has_dyn_sized_stack, 0
	.set _ZN9rocsparseL13kernel_nrminfILj256E21rocsparse_complex_numIfEEEvmPKT0_PNS_15floating_traitsIS3_E6data_tEPKS8_.has_recursion, 0
	.set _ZN9rocsparseL13kernel_nrminfILj256E21rocsparse_complex_numIfEEEvmPKT0_PNS_15floating_traitsIS3_E6data_tEPKS8_.has_indirect_call, 0
	.section	.AMDGPU.csdata,"",@progbits
; Kernel info:
; codeLenInByte = 1432
; TotalNumSgprs: 9
; NumVgprs: 8
; ScratchSize: 0
; MemoryBound: 0
; FloatMode: 240
; IeeeMode: 1
; LDSByteSize: 1024 bytes/workgroup (compile time only)
; SGPRBlocks: 0
; VGPRBlocks: 0
; NumSGPRsForWavesPerEU: 9
; NumVGPRsForWavesPerEU: 8
; NamedBarCnt: 0
; Occupancy: 16
; WaveLimiterHint : 0
; COMPUTE_PGM_RSRC2:SCRATCH_EN: 0
; COMPUTE_PGM_RSRC2:USER_SGPR: 2
; COMPUTE_PGM_RSRC2:TRAP_HANDLER: 0
; COMPUTE_PGM_RSRC2:TGID_X_EN: 1
; COMPUTE_PGM_RSRC2:TGID_Y_EN: 0
; COMPUTE_PGM_RSRC2:TGID_Z_EN: 0
; COMPUTE_PGM_RSRC2:TIDIG_COMP_CNT: 0
	.section	.text._ZN9rocsparseL18kernel_nrminf_diffILj256E21rocsparse_complex_numIdEEEvmPKT0_S5_PNS_15floating_traitsIS3_E6data_tEPKS8_,"axG",@progbits,_ZN9rocsparseL18kernel_nrminf_diffILj256E21rocsparse_complex_numIdEEEvmPKT0_S5_PNS_15floating_traitsIS3_E6data_tEPKS8_,comdat
	.globl	_ZN9rocsparseL18kernel_nrminf_diffILj256E21rocsparse_complex_numIdEEEvmPKT0_S5_PNS_15floating_traitsIS3_E6data_tEPKS8_ ; -- Begin function _ZN9rocsparseL18kernel_nrminf_diffILj256E21rocsparse_complex_numIdEEEvmPKT0_S5_PNS_15floating_traitsIS3_E6data_tEPKS8_
	.p2align	8
	.type	_ZN9rocsparseL18kernel_nrminf_diffILj256E21rocsparse_complex_numIdEEEvmPKT0_S5_PNS_15floating_traitsIS3_E6data_tEPKS8_,@function
_ZN9rocsparseL18kernel_nrminf_diffILj256E21rocsparse_complex_numIdEEEvmPKT0_S5_PNS_15floating_traitsIS3_E6data_tEPKS8_: ; @_ZN9rocsparseL18kernel_nrminf_diffILj256E21rocsparse_complex_numIdEEEvmPKT0_S5_PNS_15floating_traitsIS3_E6data_tEPKS8_
; %bb.0:
	s_load_b64 s[2:3], s[0:1], 0x0
	s_bfe_u32 s4, ttmp6, 0x4000c
	s_and_b32 s5, ttmp6, 15
	s_add_co_i32 s4, s4, 1
	s_getreg_b32 s6, hwreg(HW_REG_IB_STS2, 6, 4)
	s_mul_i32 s4, ttmp9, s4
	v_mov_b32_e32 v3, 0
	s_add_co_i32 s5, s5, s4
	s_cmp_eq_u32 s6, 0
	v_mov_b64_e32 v[6:7], 0
	s_cselect_b32 s4, ttmp9, s5
	s_delay_alu instid0(SALU_CYCLE_1) | instskip(SKIP_1) | instid1(VALU_DEP_1)
	v_lshl_or_b32 v2, s4, 8, v0
	s_wait_kmcnt 0x0
	v_cmp_gt_u64_e32 vcc_lo, s[2:3], v[2:3]
	s_and_saveexec_b32 s2, vcc_lo
	s_cbranch_execz .LBB100_8
; %bb.1:
	s_load_b128 s[4:7], s[0:1], 0x8
	v_lshlrev_b64_e32 v[2:3], 4, v[2:3]
	s_mov_b32 s3, exec_lo
	s_wait_kmcnt 0x0
	s_delay_alu instid0(VALU_DEP_1)
	v_add_nc_u64_e32 v[10:11], s[6:7], v[2:3]
	v_add_nc_u64_e32 v[12:13], s[4:5], v[2:3]
	global_load_b128 v[2:5], v[10:11], off
	global_load_b128 v[6:9], v[12:13], off
	s_wait_loadcnt 0x0
	v_add_f64_e64 v[8:9], v[8:9], -v[4:5]
	s_delay_alu instid0(VALU_DEP_1) | instskip(SKIP_1) | instid1(VALU_DEP_1)
	v_xor_b32_e32 v4, 0x80000000, v9
	v_add_f64_e64 v[2:3], v[6:7], -v[2:3]
                                        ; implicit-def: $vgpr6_vgpr7
	v_cmp_gt_f64_e32 vcc_lo, 0, v[2:3]
	v_xor_b32_e32 v1, 0x80000000, v3
	s_delay_alu instid0(VALU_DEP_1) | instskip(SKIP_2) | instid1(VALU_DEP_1)
	v_cndmask_b32_e32 v3, v3, v1, vcc_lo
	v_cmp_gt_f64_e32 vcc_lo, 0, v[8:9]
	v_dual_cndmask_b32 v5, v9, v4 :: v_dual_mov_b32 v4, v8
	v_cmpx_ngt_f64_e32 v[2:3], v[4:5]
	s_xor_b32 s3, exec_lo, s3
	s_cbranch_execz .LBB100_5
; %bb.2:
	v_mov_b64_e32 v[6:7], 0
	s_mov_b32 s4, exec_lo
	v_cmpx_neq_f64_e32 0, v[8:9]
	s_cbranch_execz .LBB100_4
; %bb.3:
	v_div_scale_f64 v[6:7], null, v[4:5], v[4:5], v[2:3]
	v_div_scale_f64 v[12:13], vcc_lo, v[2:3], v[4:5], v[2:3]
	s_delay_alu instid0(VALU_DEP_2) | instskip(SKIP_1) | instid1(TRANS32_DEP_1)
	v_rcp_f64_e32 v[8:9], v[6:7]
	v_nop
	v_fma_f64 v[10:11], -v[6:7], v[8:9], 1.0
	s_delay_alu instid0(VALU_DEP_1) | instskip(NEXT) | instid1(VALU_DEP_1)
	v_fmac_f64_e32 v[8:9], v[8:9], v[10:11]
	v_fma_f64 v[10:11], -v[6:7], v[8:9], 1.0
	s_delay_alu instid0(VALU_DEP_1) | instskip(NEXT) | instid1(VALU_DEP_1)
	v_fmac_f64_e32 v[8:9], v[8:9], v[10:11]
	v_mul_f64_e32 v[10:11], v[12:13], v[8:9]
	s_delay_alu instid0(VALU_DEP_1) | instskip(NEXT) | instid1(VALU_DEP_1)
	v_fma_f64 v[6:7], -v[6:7], v[10:11], v[12:13]
	v_div_fmas_f64 v[6:7], v[6:7], v[8:9], v[10:11]
	s_delay_alu instid0(VALU_DEP_1) | instskip(NEXT) | instid1(VALU_DEP_1)
	v_div_fixup_f64 v[2:3], v[6:7], v[4:5], v[2:3]
	v_fma_f64 v[2:3], v[2:3], v[2:3], 1.0
	s_delay_alu instid0(VALU_DEP_1) | instskip(SKIP_1) | instid1(VALU_DEP_1)
	v_cmp_gt_f64_e32 vcc_lo, 0x10000000, v[2:3]
	v_cndmask_b32_e64 v1, 0, 0x100, vcc_lo
	v_ldexp_f64 v[2:3], v[2:3], v1
	v_cndmask_b32_e64 v1, 0, 0xffffff80, vcc_lo
	s_delay_alu instid0(VALU_DEP_2) | instskip(SKIP_1) | instid1(TRANS32_DEP_1)
	v_rsq_f64_e32 v[6:7], v[2:3]
	v_cmp_class_f64_e64 vcc_lo, v[2:3], 0x260
	v_mul_f64_e32 v[8:9], v[2:3], v[6:7]
	v_mul_f64_e32 v[6:7], 0.5, v[6:7]
	s_delay_alu instid0(VALU_DEP_1) | instskip(NEXT) | instid1(VALU_DEP_1)
	v_fma_f64 v[10:11], -v[6:7], v[8:9], 0.5
	v_fmac_f64_e32 v[8:9], v[8:9], v[10:11]
	v_fmac_f64_e32 v[6:7], v[6:7], v[10:11]
	s_delay_alu instid0(VALU_DEP_2) | instskip(NEXT) | instid1(VALU_DEP_1)
	v_fma_f64 v[10:11], -v[8:9], v[8:9], v[2:3]
	v_fmac_f64_e32 v[8:9], v[10:11], v[6:7]
	s_delay_alu instid0(VALU_DEP_1) | instskip(NEXT) | instid1(VALU_DEP_1)
	v_fma_f64 v[10:11], -v[8:9], v[8:9], v[2:3]
	v_fmac_f64_e32 v[8:9], v[10:11], v[6:7]
	s_delay_alu instid0(VALU_DEP_1) | instskip(NEXT) | instid1(VALU_DEP_1)
	v_ldexp_f64 v[6:7], v[8:9], v1
	v_dual_cndmask_b32 v3, v7, v3 :: v_dual_cndmask_b32 v2, v6, v2
	s_delay_alu instid0(VALU_DEP_1)
	v_mul_f64_e32 v[6:7], v[4:5], v[2:3]
.LBB100_4:
	s_or_b32 exec_lo, exec_lo, s4
                                        ; implicit-def: $vgpr2_vgpr3
                                        ; implicit-def: $vgpr4_vgpr5
.LBB100_5:
	s_and_not1_saveexec_b32 s3, s3
	s_cbranch_execz .LBB100_7
; %bb.6:
	v_div_scale_f64 v[6:7], null, v[2:3], v[2:3], v[4:5]
	v_div_scale_f64 v[12:13], vcc_lo, v[4:5], v[2:3], v[4:5]
	s_delay_alu instid0(VALU_DEP_2) | instskip(SKIP_1) | instid1(TRANS32_DEP_1)
	v_rcp_f64_e32 v[8:9], v[6:7]
	v_nop
	v_fma_f64 v[10:11], -v[6:7], v[8:9], 1.0
	s_delay_alu instid0(VALU_DEP_1) | instskip(NEXT) | instid1(VALU_DEP_1)
	v_fmac_f64_e32 v[8:9], v[8:9], v[10:11]
	v_fma_f64 v[10:11], -v[6:7], v[8:9], 1.0
	s_delay_alu instid0(VALU_DEP_1) | instskip(NEXT) | instid1(VALU_DEP_1)
	v_fmac_f64_e32 v[8:9], v[8:9], v[10:11]
	v_mul_f64_e32 v[10:11], v[12:13], v[8:9]
	s_delay_alu instid0(VALU_DEP_1) | instskip(NEXT) | instid1(VALU_DEP_1)
	v_fma_f64 v[6:7], -v[6:7], v[10:11], v[12:13]
	v_div_fmas_f64 v[6:7], v[6:7], v[8:9], v[10:11]
	s_delay_alu instid0(VALU_DEP_1) | instskip(NEXT) | instid1(VALU_DEP_1)
	v_div_fixup_f64 v[4:5], v[6:7], v[2:3], v[4:5]
	v_fma_f64 v[4:5], v[4:5], v[4:5], 1.0
	s_delay_alu instid0(VALU_DEP_1) | instskip(SKIP_1) | instid1(VALU_DEP_1)
	v_cmp_gt_f64_e32 vcc_lo, 0x10000000, v[4:5]
	v_cndmask_b32_e64 v1, 0, 0x100, vcc_lo
	v_ldexp_f64 v[4:5], v[4:5], v1
	v_cndmask_b32_e64 v1, 0, 0xffffff80, vcc_lo
	s_delay_alu instid0(VALU_DEP_2) | instskip(SKIP_1) | instid1(TRANS32_DEP_1)
	v_rsq_f64_e32 v[6:7], v[4:5]
	v_cmp_class_f64_e64 vcc_lo, v[4:5], 0x260
	v_mul_f64_e32 v[8:9], v[4:5], v[6:7]
	v_mul_f64_e32 v[6:7], 0.5, v[6:7]
	s_delay_alu instid0(VALU_DEP_1) | instskip(NEXT) | instid1(VALU_DEP_1)
	v_fma_f64 v[10:11], -v[6:7], v[8:9], 0.5
	v_fmac_f64_e32 v[8:9], v[8:9], v[10:11]
	v_fmac_f64_e32 v[6:7], v[6:7], v[10:11]
	s_delay_alu instid0(VALU_DEP_2) | instskip(NEXT) | instid1(VALU_DEP_1)
	v_fma_f64 v[10:11], -v[8:9], v[8:9], v[4:5]
	v_fmac_f64_e32 v[8:9], v[10:11], v[6:7]
	s_delay_alu instid0(VALU_DEP_1) | instskip(NEXT) | instid1(VALU_DEP_1)
	v_fma_f64 v[10:11], -v[8:9], v[8:9], v[4:5]
	v_fmac_f64_e32 v[8:9], v[10:11], v[6:7]
	s_delay_alu instid0(VALU_DEP_1) | instskip(NEXT) | instid1(VALU_DEP_1)
	v_ldexp_f64 v[6:7], v[8:9], v1
	v_dual_cndmask_b32 v5, v7, v5 :: v_dual_cndmask_b32 v4, v6, v4
	s_delay_alu instid0(VALU_DEP_1)
	v_mul_f64_e32 v[6:7], v[2:3], v[4:5]
.LBB100_7:
	s_or_b32 exec_lo, exec_lo, s3
.LBB100_8:
	s_delay_alu instid0(SALU_CYCLE_1)
	s_or_b32 exec_lo, exec_lo, s2
	v_lshlrev_b32_e32 v1, 3, v0
	s_mov_b32 s2, exec_lo
	ds_store_b64 v1, v[6:7]
	s_wait_dscnt 0x0
	s_barrier_signal -1
	s_barrier_wait -1
	v_cmpx_gt_u32_e32 0x80, v0
	s_cbranch_execz .LBB100_10
; %bb.9:
	ds_load_2addr_stride64_b64 v[2:5], v1 offset1:2
	s_wait_dscnt 0x0
	v_cmp_lt_f64_e32 vcc_lo, v[2:3], v[4:5]
	v_dual_cndmask_b32 v3, v3, v5 :: v_dual_cndmask_b32 v2, v2, v4
	ds_store_b64 v1, v[2:3]
.LBB100_10:
	s_or_b32 exec_lo, exec_lo, s2
	s_delay_alu instid0(SALU_CYCLE_1)
	s_mov_b32 s2, exec_lo
	s_wait_dscnt 0x0
	s_barrier_signal -1
	s_barrier_wait -1
	v_cmpx_gt_u32_e32 64, v0
	s_cbranch_execz .LBB100_12
; %bb.11:
	ds_load_2addr_stride64_b64 v[2:5], v1 offset1:1
	s_wait_dscnt 0x0
	v_cmp_lt_f64_e32 vcc_lo, v[2:3], v[4:5]
	v_dual_cndmask_b32 v3, v3, v5 :: v_dual_cndmask_b32 v2, v2, v4
	ds_store_b64 v1, v[2:3]
.LBB100_12:
	s_or_b32 exec_lo, exec_lo, s2
	s_delay_alu instid0(SALU_CYCLE_1)
	s_mov_b32 s2, exec_lo
	s_wait_dscnt 0x0
	s_barrier_signal -1
	s_barrier_wait -1
	v_cmpx_gt_u32_e32 32, v0
	s_cbranch_execz .LBB100_14
; %bb.13:
	ds_load_2addr_b64 v[2:5], v1 offset1:32
	s_wait_dscnt 0x0
	v_cmp_lt_f64_e32 vcc_lo, v[2:3], v[4:5]
	v_dual_cndmask_b32 v3, v3, v5 :: v_dual_cndmask_b32 v2, v2, v4
	ds_store_b64 v1, v[2:3]
.LBB100_14:
	s_or_b32 exec_lo, exec_lo, s2
	s_delay_alu instid0(SALU_CYCLE_1)
	s_mov_b32 s2, exec_lo
	s_wait_dscnt 0x0
	s_barrier_signal -1
	s_barrier_wait -1
	v_cmpx_gt_u32_e32 16, v0
	s_cbranch_execz .LBB100_16
; %bb.15:
	ds_load_2addr_b64 v[2:5], v1 offset1:16
	s_wait_dscnt 0x0
	v_cmp_lt_f64_e32 vcc_lo, v[2:3], v[4:5]
	v_dual_cndmask_b32 v3, v3, v5 :: v_dual_cndmask_b32 v2, v2, v4
	ds_store_b64 v1, v[2:3]
.LBB100_16:
	;; [unrolled: 15-line block ×5, first 2 shown]
	s_or_b32 exec_lo, exec_lo, s2
	v_cmp_eq_u32_e32 vcc_lo, 0, v0
	s_wait_dscnt 0x0
	s_barrier_signal -1
	s_barrier_wait -1
	s_and_saveexec_b32 s3, vcc_lo
	s_cbranch_execz .LBB100_24
; %bb.23:
	v_mov_b32_e32 v4, 0
	ds_load_b128 v[0:3], v4
	s_wait_dscnt 0x0
	v_cmp_lt_f64_e64 s2, v[0:1], v[2:3]
	s_delay_alu instid0(VALU_DEP_1)
	v_dual_cndmask_b32 v1, v1, v3, s2 :: v_dual_cndmask_b32 v0, v0, v2, s2
	ds_store_b64 v4, v[0:1]
.LBB100_24:
	s_or_b32 exec_lo, exec_lo, s3
	s_wait_dscnt 0x0
	s_barrier_signal -1
	s_barrier_wait -1
	s_and_saveexec_b32 s2, vcc_lo
	s_cbranch_execz .LBB100_29
; %bb.25:
	v_mov_b32_e32 v0, 0
	s_load_b64 s[2:3], s[0:1], 0x20
	ds_load_b64 v[0:1], v0
	s_wait_kmcnt 0x0
	s_cmp_eq_u64 s[2:3], 0
	s_cbranch_scc1 .LBB100_27
; %bb.26:
	s_load_b64 s[2:3], s[2:3], 0x0
	s_wait_dscnt 0x0
	s_wait_kmcnt 0x0
	v_div_scale_f64 v[2:3], null, s[2:3], s[2:3], v[0:1]
	s_delay_alu instid0(VALU_DEP_1) | instskip(SKIP_1) | instid1(TRANS32_DEP_1)
	v_rcp_f64_e32 v[4:5], v[2:3]
	v_nop
	v_fma_f64 v[6:7], -v[2:3], v[4:5], 1.0
	s_delay_alu instid0(VALU_DEP_1) | instskip(NEXT) | instid1(VALU_DEP_1)
	v_fmac_f64_e32 v[4:5], v[4:5], v[6:7]
	v_fma_f64 v[6:7], -v[2:3], v[4:5], 1.0
	s_delay_alu instid0(VALU_DEP_1) | instskip(SKIP_1) | instid1(VALU_DEP_1)
	v_fmac_f64_e32 v[4:5], v[4:5], v[6:7]
	v_div_scale_f64 v[6:7], vcc_lo, v[0:1], s[2:3], v[0:1]
	v_mul_f64_e32 v[8:9], v[6:7], v[4:5]
	s_delay_alu instid0(VALU_DEP_1) | instskip(NEXT) | instid1(VALU_DEP_1)
	v_fma_f64 v[2:3], -v[2:3], v[8:9], v[6:7]
	v_div_fmas_f64 v[2:3], v[2:3], v[4:5], v[8:9]
	s_delay_alu instid0(VALU_DEP_1)
	v_div_fixup_f64 v[0:1], v[2:3], s[2:3], v[0:1]
.LBB100_27:
	v_mbcnt_lo_u32_b32 v2, exec_lo, 0
	s_delay_alu instid0(VALU_DEP_1)
	v_cmp_eq_u32_e32 vcc_lo, 0, v2
	s_and_b32 exec_lo, exec_lo, vcc_lo
	s_cbranch_execz .LBB100_29
; %bb.28:
	s_load_b64 s[0:1], s[0:1], 0x18
	v_mov_b32_e32 v2, 0
	s_wait_xcnt 0x0
	s_wait_dscnt 0x0
	s_wait_kmcnt 0x0
	global_atomic_max_num_f64 v2, v[0:1], s[0:1] scope:SCOPE_DEV
.LBB100_29:
	s_endpgm
	.section	.rodata,"a",@progbits
	.p2align	6, 0x0
	.amdhsa_kernel _ZN9rocsparseL18kernel_nrminf_diffILj256E21rocsparse_complex_numIdEEEvmPKT0_S5_PNS_15floating_traitsIS3_E6data_tEPKS8_
		.amdhsa_group_segment_fixed_size 2048
		.amdhsa_private_segment_fixed_size 0
		.amdhsa_kernarg_size 40
		.amdhsa_user_sgpr_count 2
		.amdhsa_user_sgpr_dispatch_ptr 0
		.amdhsa_user_sgpr_queue_ptr 0
		.amdhsa_user_sgpr_kernarg_segment_ptr 1
		.amdhsa_user_sgpr_dispatch_id 0
		.amdhsa_user_sgpr_kernarg_preload_length 0
		.amdhsa_user_sgpr_kernarg_preload_offset 0
		.amdhsa_user_sgpr_private_segment_size 0
		.amdhsa_wavefront_size32 1
		.amdhsa_uses_dynamic_stack 0
		.amdhsa_enable_private_segment 0
		.amdhsa_system_sgpr_workgroup_id_x 1
		.amdhsa_system_sgpr_workgroup_id_y 0
		.amdhsa_system_sgpr_workgroup_id_z 0
		.amdhsa_system_sgpr_workgroup_info 0
		.amdhsa_system_vgpr_workitem_id 0
		.amdhsa_next_free_vgpr 14
		.amdhsa_next_free_sgpr 8
		.amdhsa_named_barrier_count 0
		.amdhsa_reserve_vcc 1
		.amdhsa_float_round_mode_32 0
		.amdhsa_float_round_mode_16_64 0
		.amdhsa_float_denorm_mode_32 3
		.amdhsa_float_denorm_mode_16_64 3
		.amdhsa_fp16_overflow 0
		.amdhsa_memory_ordered 1
		.amdhsa_forward_progress 1
		.amdhsa_inst_pref_size 12
		.amdhsa_round_robin_scheduling 0
		.amdhsa_exception_fp_ieee_invalid_op 0
		.amdhsa_exception_fp_denorm_src 0
		.amdhsa_exception_fp_ieee_div_zero 0
		.amdhsa_exception_fp_ieee_overflow 0
		.amdhsa_exception_fp_ieee_underflow 0
		.amdhsa_exception_fp_ieee_inexact 0
		.amdhsa_exception_int_div_zero 0
	.end_amdhsa_kernel
	.section	.text._ZN9rocsparseL18kernel_nrminf_diffILj256E21rocsparse_complex_numIdEEEvmPKT0_S5_PNS_15floating_traitsIS3_E6data_tEPKS8_,"axG",@progbits,_ZN9rocsparseL18kernel_nrminf_diffILj256E21rocsparse_complex_numIdEEEvmPKT0_S5_PNS_15floating_traitsIS3_E6data_tEPKS8_,comdat
.Lfunc_end100:
	.size	_ZN9rocsparseL18kernel_nrminf_diffILj256E21rocsparse_complex_numIdEEEvmPKT0_S5_PNS_15floating_traitsIS3_E6data_tEPKS8_, .Lfunc_end100-_ZN9rocsparseL18kernel_nrminf_diffILj256E21rocsparse_complex_numIdEEEvmPKT0_S5_PNS_15floating_traitsIS3_E6data_tEPKS8_
                                        ; -- End function
	.set _ZN9rocsparseL18kernel_nrminf_diffILj256E21rocsparse_complex_numIdEEEvmPKT0_S5_PNS_15floating_traitsIS3_E6data_tEPKS8_.num_vgpr, 14
	.set _ZN9rocsparseL18kernel_nrminf_diffILj256E21rocsparse_complex_numIdEEEvmPKT0_S5_PNS_15floating_traitsIS3_E6data_tEPKS8_.num_agpr, 0
	.set _ZN9rocsparseL18kernel_nrminf_diffILj256E21rocsparse_complex_numIdEEEvmPKT0_S5_PNS_15floating_traitsIS3_E6data_tEPKS8_.numbered_sgpr, 8
	.set _ZN9rocsparseL18kernel_nrminf_diffILj256E21rocsparse_complex_numIdEEEvmPKT0_S5_PNS_15floating_traitsIS3_E6data_tEPKS8_.num_named_barrier, 0
	.set _ZN9rocsparseL18kernel_nrminf_diffILj256E21rocsparse_complex_numIdEEEvmPKT0_S5_PNS_15floating_traitsIS3_E6data_tEPKS8_.private_seg_size, 0
	.set _ZN9rocsparseL18kernel_nrminf_diffILj256E21rocsparse_complex_numIdEEEvmPKT0_S5_PNS_15floating_traitsIS3_E6data_tEPKS8_.uses_vcc, 1
	.set _ZN9rocsparseL18kernel_nrminf_diffILj256E21rocsparse_complex_numIdEEEvmPKT0_S5_PNS_15floating_traitsIS3_E6data_tEPKS8_.uses_flat_scratch, 0
	.set _ZN9rocsparseL18kernel_nrminf_diffILj256E21rocsparse_complex_numIdEEEvmPKT0_S5_PNS_15floating_traitsIS3_E6data_tEPKS8_.has_dyn_sized_stack, 0
	.set _ZN9rocsparseL18kernel_nrminf_diffILj256E21rocsparse_complex_numIdEEEvmPKT0_S5_PNS_15floating_traitsIS3_E6data_tEPKS8_.has_recursion, 0
	.set _ZN9rocsparseL18kernel_nrminf_diffILj256E21rocsparse_complex_numIdEEEvmPKT0_S5_PNS_15floating_traitsIS3_E6data_tEPKS8_.has_indirect_call, 0
	.section	.AMDGPU.csdata,"",@progbits
; Kernel info:
; codeLenInByte = 1528
; TotalNumSgprs: 10
; NumVgprs: 14
; ScratchSize: 0
; MemoryBound: 1
; FloatMode: 240
; IeeeMode: 1
; LDSByteSize: 2048 bytes/workgroup (compile time only)
; SGPRBlocks: 0
; VGPRBlocks: 0
; NumSGPRsForWavesPerEU: 10
; NumVGPRsForWavesPerEU: 14
; NamedBarCnt: 0
; Occupancy: 16
; WaveLimiterHint : 0
; COMPUTE_PGM_RSRC2:SCRATCH_EN: 0
; COMPUTE_PGM_RSRC2:USER_SGPR: 2
; COMPUTE_PGM_RSRC2:TRAP_HANDLER: 0
; COMPUTE_PGM_RSRC2:TGID_X_EN: 1
; COMPUTE_PGM_RSRC2:TGID_Y_EN: 0
; COMPUTE_PGM_RSRC2:TGID_Z_EN: 0
; COMPUTE_PGM_RSRC2:TIDIG_COMP_CNT: 0
	.section	.text._ZN9rocsparseL13kernel_nrminfILj256E21rocsparse_complex_numIdEEEvmPKT0_PNS_15floating_traitsIS3_E6data_tEPKS8_,"axG",@progbits,_ZN9rocsparseL13kernel_nrminfILj256E21rocsparse_complex_numIdEEEvmPKT0_PNS_15floating_traitsIS3_E6data_tEPKS8_,comdat
	.globl	_ZN9rocsparseL13kernel_nrminfILj256E21rocsparse_complex_numIdEEEvmPKT0_PNS_15floating_traitsIS3_E6data_tEPKS8_ ; -- Begin function _ZN9rocsparseL13kernel_nrminfILj256E21rocsparse_complex_numIdEEEvmPKT0_PNS_15floating_traitsIS3_E6data_tEPKS8_
	.p2align	8
	.type	_ZN9rocsparseL13kernel_nrminfILj256E21rocsparse_complex_numIdEEEvmPKT0_PNS_15floating_traitsIS3_E6data_tEPKS8_,@function
_ZN9rocsparseL13kernel_nrminfILj256E21rocsparse_complex_numIdEEEvmPKT0_PNS_15floating_traitsIS3_E6data_tEPKS8_: ; @_ZN9rocsparseL13kernel_nrminfILj256E21rocsparse_complex_numIdEEEvmPKT0_PNS_15floating_traitsIS3_E6data_tEPKS8_
; %bb.0:
	s_load_b64 s[2:3], s[0:1], 0x0
	s_bfe_u32 s4, ttmp6, 0x4000c
	s_and_b32 s5, ttmp6, 15
	s_add_co_i32 s4, s4, 1
	s_getreg_b32 s6, hwreg(HW_REG_IB_STS2, 6, 4)
	s_mul_i32 s4, ttmp9, s4
	v_mov_b32_e32 v3, 0
	s_add_co_i32 s5, s5, s4
	s_cmp_eq_u32 s6, 0
	v_mov_b64_e32 v[8:9], 0
	s_cselect_b32 s4, ttmp9, s5
	s_delay_alu instid0(SALU_CYCLE_1) | instskip(SKIP_1) | instid1(VALU_DEP_1)
	v_lshl_or_b32 v2, s4, 8, v0
	s_wait_kmcnt 0x0
	v_cmp_gt_u64_e32 vcc_lo, s[2:3], v[2:3]
	s_and_saveexec_b32 s2, vcc_lo
	s_cbranch_execz .LBB101_8
; %bb.1:
	s_load_b64 s[4:5], s[0:1], 0x8
	s_mov_b32 s3, exec_lo
                                        ; implicit-def: $vgpr8_vgpr9
	s_wait_kmcnt 0x0
	v_lshl_add_u64 v[2:3], v[2:3], 4, s[4:5]
	global_load_b128 v[2:5], v[2:3], off
	s_wait_loadcnt 0x0
	v_cmp_gt_f64_e32 vcc_lo, 0, v[2:3]
	v_xor_b32_e32 v1, 0x80000000, v3
	v_xor_b32_e32 v6, 0x80000000, v5
	s_delay_alu instid0(VALU_DEP_2) | instskip(SKIP_1) | instid1(VALU_DEP_3)
	v_cndmask_b32_e32 v3, v3, v1, vcc_lo
	v_cmp_gt_f64_e32 vcc_lo, 0, v[4:5]
	v_dual_cndmask_b32 v7, v5, v6 :: v_dual_mov_b32 v6, v4
	s_delay_alu instid0(VALU_DEP_1)
	v_cmpx_ngt_f64_e32 v[2:3], v[6:7]
	s_xor_b32 s3, exec_lo, s3
	s_cbranch_execz .LBB101_5
; %bb.2:
	v_mov_b64_e32 v[8:9], 0
	s_mov_b32 s4, exec_lo
	v_cmpx_neq_f64_e32 0, v[4:5]
	s_cbranch_execz .LBB101_4
; %bb.3:
	v_div_scale_f64 v[4:5], null, v[6:7], v[6:7], v[2:3]
	v_div_scale_f64 v[12:13], vcc_lo, v[2:3], v[6:7], v[2:3]
	s_delay_alu instid0(VALU_DEP_2) | instskip(SKIP_1) | instid1(TRANS32_DEP_1)
	v_rcp_f64_e32 v[8:9], v[4:5]
	v_nop
	v_fma_f64 v[10:11], -v[4:5], v[8:9], 1.0
	s_delay_alu instid0(VALU_DEP_1) | instskip(NEXT) | instid1(VALU_DEP_1)
	v_fmac_f64_e32 v[8:9], v[8:9], v[10:11]
	v_fma_f64 v[10:11], -v[4:5], v[8:9], 1.0
	s_delay_alu instid0(VALU_DEP_1) | instskip(NEXT) | instid1(VALU_DEP_1)
	v_fmac_f64_e32 v[8:9], v[8:9], v[10:11]
	v_mul_f64_e32 v[10:11], v[12:13], v[8:9]
	s_delay_alu instid0(VALU_DEP_1) | instskip(NEXT) | instid1(VALU_DEP_1)
	v_fma_f64 v[4:5], -v[4:5], v[10:11], v[12:13]
	v_div_fmas_f64 v[4:5], v[4:5], v[8:9], v[10:11]
	s_delay_alu instid0(VALU_DEP_1) | instskip(NEXT) | instid1(VALU_DEP_1)
	v_div_fixup_f64 v[2:3], v[4:5], v[6:7], v[2:3]
	v_fma_f64 v[2:3], v[2:3], v[2:3], 1.0
	s_delay_alu instid0(VALU_DEP_1) | instskip(SKIP_1) | instid1(VALU_DEP_1)
	v_cmp_gt_f64_e32 vcc_lo, 0x10000000, v[2:3]
	v_cndmask_b32_e64 v1, 0, 0x100, vcc_lo
	v_ldexp_f64 v[2:3], v[2:3], v1
	v_cndmask_b32_e64 v1, 0, 0xffffff80, vcc_lo
	s_delay_alu instid0(VALU_DEP_2) | instskip(SKIP_1) | instid1(TRANS32_DEP_1)
	v_rsq_f64_e32 v[4:5], v[2:3]
	v_cmp_class_f64_e64 vcc_lo, v[2:3], 0x260
	v_mul_f64_e32 v[8:9], v[2:3], v[4:5]
	v_mul_f64_e32 v[4:5], 0.5, v[4:5]
	s_delay_alu instid0(VALU_DEP_1) | instskip(NEXT) | instid1(VALU_DEP_1)
	v_fma_f64 v[10:11], -v[4:5], v[8:9], 0.5
	v_fmac_f64_e32 v[8:9], v[8:9], v[10:11]
	v_fmac_f64_e32 v[4:5], v[4:5], v[10:11]
	s_delay_alu instid0(VALU_DEP_2) | instskip(NEXT) | instid1(VALU_DEP_1)
	v_fma_f64 v[10:11], -v[8:9], v[8:9], v[2:3]
	v_fmac_f64_e32 v[8:9], v[10:11], v[4:5]
	s_delay_alu instid0(VALU_DEP_1) | instskip(NEXT) | instid1(VALU_DEP_1)
	v_fma_f64 v[10:11], -v[8:9], v[8:9], v[2:3]
	v_fmac_f64_e32 v[8:9], v[10:11], v[4:5]
	s_delay_alu instid0(VALU_DEP_1) | instskip(NEXT) | instid1(VALU_DEP_1)
	v_ldexp_f64 v[4:5], v[8:9], v1
	v_dual_cndmask_b32 v3, v5, v3 :: v_dual_cndmask_b32 v2, v4, v2
	s_delay_alu instid0(VALU_DEP_1)
	v_mul_f64_e32 v[8:9], v[6:7], v[2:3]
.LBB101_4:
	s_or_b32 exec_lo, exec_lo, s4
                                        ; implicit-def: $vgpr2_vgpr3
                                        ; implicit-def: $vgpr6_vgpr7
.LBB101_5:
	s_and_not1_saveexec_b32 s3, s3
	s_cbranch_execz .LBB101_7
; %bb.6:
	v_div_scale_f64 v[4:5], null, v[2:3], v[2:3], v[6:7]
	v_div_scale_f64 v[12:13], vcc_lo, v[6:7], v[2:3], v[6:7]
	s_delay_alu instid0(VALU_DEP_2) | instskip(SKIP_1) | instid1(TRANS32_DEP_1)
	v_rcp_f64_e32 v[8:9], v[4:5]
	v_nop
	v_fma_f64 v[10:11], -v[4:5], v[8:9], 1.0
	s_delay_alu instid0(VALU_DEP_1) | instskip(NEXT) | instid1(VALU_DEP_1)
	v_fmac_f64_e32 v[8:9], v[8:9], v[10:11]
	v_fma_f64 v[10:11], -v[4:5], v[8:9], 1.0
	s_delay_alu instid0(VALU_DEP_1) | instskip(NEXT) | instid1(VALU_DEP_1)
	v_fmac_f64_e32 v[8:9], v[8:9], v[10:11]
	v_mul_f64_e32 v[10:11], v[12:13], v[8:9]
	s_delay_alu instid0(VALU_DEP_1) | instskip(NEXT) | instid1(VALU_DEP_1)
	v_fma_f64 v[4:5], -v[4:5], v[10:11], v[12:13]
	v_div_fmas_f64 v[4:5], v[4:5], v[8:9], v[10:11]
	s_delay_alu instid0(VALU_DEP_1) | instskip(NEXT) | instid1(VALU_DEP_1)
	v_div_fixup_f64 v[4:5], v[4:5], v[2:3], v[6:7]
	v_fma_f64 v[4:5], v[4:5], v[4:5], 1.0
	s_delay_alu instid0(VALU_DEP_1) | instskip(SKIP_1) | instid1(VALU_DEP_1)
	v_cmp_gt_f64_e32 vcc_lo, 0x10000000, v[4:5]
	v_cndmask_b32_e64 v1, 0, 0x100, vcc_lo
	v_ldexp_f64 v[4:5], v[4:5], v1
	v_cndmask_b32_e64 v1, 0, 0xffffff80, vcc_lo
	s_delay_alu instid0(VALU_DEP_2) | instskip(SKIP_1) | instid1(TRANS32_DEP_1)
	v_rsq_f64_e32 v[6:7], v[4:5]
	v_cmp_class_f64_e64 vcc_lo, v[4:5], 0x260
	v_mul_f64_e32 v[8:9], v[4:5], v[6:7]
	v_mul_f64_e32 v[6:7], 0.5, v[6:7]
	s_delay_alu instid0(VALU_DEP_1) | instskip(NEXT) | instid1(VALU_DEP_1)
	v_fma_f64 v[10:11], -v[6:7], v[8:9], 0.5
	v_fmac_f64_e32 v[8:9], v[8:9], v[10:11]
	v_fmac_f64_e32 v[6:7], v[6:7], v[10:11]
	s_delay_alu instid0(VALU_DEP_2) | instskip(NEXT) | instid1(VALU_DEP_1)
	v_fma_f64 v[10:11], -v[8:9], v[8:9], v[4:5]
	v_fmac_f64_e32 v[8:9], v[10:11], v[6:7]
	s_delay_alu instid0(VALU_DEP_1) | instskip(NEXT) | instid1(VALU_DEP_1)
	v_fma_f64 v[10:11], -v[8:9], v[8:9], v[4:5]
	v_fmac_f64_e32 v[8:9], v[10:11], v[6:7]
	s_delay_alu instid0(VALU_DEP_1) | instskip(NEXT) | instid1(VALU_DEP_1)
	v_ldexp_f64 v[6:7], v[8:9], v1
	v_dual_cndmask_b32 v5, v7, v5 :: v_dual_cndmask_b32 v4, v6, v4
	s_delay_alu instid0(VALU_DEP_1)
	v_mul_f64_e32 v[8:9], v[2:3], v[4:5]
.LBB101_7:
	s_or_b32 exec_lo, exec_lo, s3
.LBB101_8:
	s_delay_alu instid0(SALU_CYCLE_1)
	s_or_b32 exec_lo, exec_lo, s2
	v_lshlrev_b32_e32 v1, 3, v0
	s_mov_b32 s2, exec_lo
	ds_store_b64 v1, v[8:9]
	s_wait_dscnt 0x0
	s_barrier_signal -1
	s_barrier_wait -1
	v_cmpx_gt_u32_e32 0x80, v0
	s_cbranch_execz .LBB101_10
; %bb.9:
	ds_load_2addr_stride64_b64 v[2:5], v1 offset1:2
	s_wait_dscnt 0x0
	v_cmp_lt_f64_e32 vcc_lo, v[2:3], v[4:5]
	v_dual_cndmask_b32 v3, v3, v5 :: v_dual_cndmask_b32 v2, v2, v4
	ds_store_b64 v1, v[2:3]
.LBB101_10:
	s_or_b32 exec_lo, exec_lo, s2
	s_delay_alu instid0(SALU_CYCLE_1)
	s_mov_b32 s2, exec_lo
	s_wait_dscnt 0x0
	s_barrier_signal -1
	s_barrier_wait -1
	v_cmpx_gt_u32_e32 64, v0
	s_cbranch_execz .LBB101_12
; %bb.11:
	ds_load_2addr_stride64_b64 v[2:5], v1 offset1:1
	s_wait_dscnt 0x0
	v_cmp_lt_f64_e32 vcc_lo, v[2:3], v[4:5]
	v_dual_cndmask_b32 v3, v3, v5 :: v_dual_cndmask_b32 v2, v2, v4
	ds_store_b64 v1, v[2:3]
.LBB101_12:
	s_or_b32 exec_lo, exec_lo, s2
	s_delay_alu instid0(SALU_CYCLE_1)
	s_mov_b32 s2, exec_lo
	s_wait_dscnt 0x0
	s_barrier_signal -1
	s_barrier_wait -1
	v_cmpx_gt_u32_e32 32, v0
	s_cbranch_execz .LBB101_14
; %bb.13:
	ds_load_2addr_b64 v[2:5], v1 offset1:32
	s_wait_dscnt 0x0
	v_cmp_lt_f64_e32 vcc_lo, v[2:3], v[4:5]
	v_dual_cndmask_b32 v3, v3, v5 :: v_dual_cndmask_b32 v2, v2, v4
	ds_store_b64 v1, v[2:3]
.LBB101_14:
	s_or_b32 exec_lo, exec_lo, s2
	s_delay_alu instid0(SALU_CYCLE_1)
	s_mov_b32 s2, exec_lo
	s_wait_dscnt 0x0
	s_barrier_signal -1
	s_barrier_wait -1
	v_cmpx_gt_u32_e32 16, v0
	s_cbranch_execz .LBB101_16
; %bb.15:
	ds_load_2addr_b64 v[2:5], v1 offset1:16
	s_wait_dscnt 0x0
	v_cmp_lt_f64_e32 vcc_lo, v[2:3], v[4:5]
	v_dual_cndmask_b32 v3, v3, v5 :: v_dual_cndmask_b32 v2, v2, v4
	ds_store_b64 v1, v[2:3]
.LBB101_16:
	;; [unrolled: 15-line block ×5, first 2 shown]
	s_or_b32 exec_lo, exec_lo, s2
	v_cmp_eq_u32_e32 vcc_lo, 0, v0
	s_wait_dscnt 0x0
	s_barrier_signal -1
	s_barrier_wait -1
	s_and_saveexec_b32 s3, vcc_lo
	s_cbranch_execz .LBB101_24
; %bb.23:
	v_mov_b32_e32 v4, 0
	ds_load_b128 v[0:3], v4
	s_wait_dscnt 0x0
	v_cmp_lt_f64_e64 s2, v[0:1], v[2:3]
	s_delay_alu instid0(VALU_DEP_1)
	v_dual_cndmask_b32 v1, v1, v3, s2 :: v_dual_cndmask_b32 v0, v0, v2, s2
	ds_store_b64 v4, v[0:1]
.LBB101_24:
	s_or_b32 exec_lo, exec_lo, s3
	s_wait_dscnt 0x0
	s_barrier_signal -1
	s_barrier_wait -1
	s_and_saveexec_b32 s2, vcc_lo
	s_cbranch_execz .LBB101_29
; %bb.25:
	v_mov_b32_e32 v0, 0
	s_load_b64 s[2:3], s[0:1], 0x18
	ds_load_b64 v[0:1], v0
	s_wait_kmcnt 0x0
	s_cmp_eq_u64 s[2:3], 0
	s_cbranch_scc1 .LBB101_27
; %bb.26:
	s_load_b64 s[2:3], s[2:3], 0x0
	s_wait_dscnt 0x0
	s_wait_kmcnt 0x0
	v_div_scale_f64 v[2:3], null, s[2:3], s[2:3], v[0:1]
	s_delay_alu instid0(VALU_DEP_1) | instskip(SKIP_1) | instid1(TRANS32_DEP_1)
	v_rcp_f64_e32 v[4:5], v[2:3]
	v_nop
	v_fma_f64 v[6:7], -v[2:3], v[4:5], 1.0
	s_delay_alu instid0(VALU_DEP_1) | instskip(NEXT) | instid1(VALU_DEP_1)
	v_fmac_f64_e32 v[4:5], v[4:5], v[6:7]
	v_fma_f64 v[6:7], -v[2:3], v[4:5], 1.0
	s_delay_alu instid0(VALU_DEP_1) | instskip(SKIP_1) | instid1(VALU_DEP_1)
	v_fmac_f64_e32 v[4:5], v[4:5], v[6:7]
	v_div_scale_f64 v[6:7], vcc_lo, v[0:1], s[2:3], v[0:1]
	v_mul_f64_e32 v[8:9], v[6:7], v[4:5]
	s_delay_alu instid0(VALU_DEP_1) | instskip(NEXT) | instid1(VALU_DEP_1)
	v_fma_f64 v[2:3], -v[2:3], v[8:9], v[6:7]
	v_div_fmas_f64 v[2:3], v[2:3], v[4:5], v[8:9]
	s_delay_alu instid0(VALU_DEP_1)
	v_div_fixup_f64 v[0:1], v[2:3], s[2:3], v[0:1]
.LBB101_27:
	v_mbcnt_lo_u32_b32 v2, exec_lo, 0
	s_delay_alu instid0(VALU_DEP_1)
	v_cmp_eq_u32_e32 vcc_lo, 0, v2
	s_and_b32 exec_lo, exec_lo, vcc_lo
	s_cbranch_execz .LBB101_29
; %bb.28:
	s_load_b64 s[0:1], s[0:1], 0x10
	v_mov_b32_e32 v2, 0
	s_wait_xcnt 0x0
	s_wait_dscnt 0x0
	s_wait_kmcnt 0x0
	global_atomic_max_num_f64 v2, v[0:1], s[0:1] scope:SCOPE_DEV
.LBB101_29:
	s_endpgm
	.section	.rodata,"a",@progbits
	.p2align	6, 0x0
	.amdhsa_kernel _ZN9rocsparseL13kernel_nrminfILj256E21rocsparse_complex_numIdEEEvmPKT0_PNS_15floating_traitsIS3_E6data_tEPKS8_
		.amdhsa_group_segment_fixed_size 2048
		.amdhsa_private_segment_fixed_size 0
		.amdhsa_kernarg_size 32
		.amdhsa_user_sgpr_count 2
		.amdhsa_user_sgpr_dispatch_ptr 0
		.amdhsa_user_sgpr_queue_ptr 0
		.amdhsa_user_sgpr_kernarg_segment_ptr 1
		.amdhsa_user_sgpr_dispatch_id 0
		.amdhsa_user_sgpr_kernarg_preload_length 0
		.amdhsa_user_sgpr_kernarg_preload_offset 0
		.amdhsa_user_sgpr_private_segment_size 0
		.amdhsa_wavefront_size32 1
		.amdhsa_uses_dynamic_stack 0
		.amdhsa_enable_private_segment 0
		.amdhsa_system_sgpr_workgroup_id_x 1
		.amdhsa_system_sgpr_workgroup_id_y 0
		.amdhsa_system_sgpr_workgroup_id_z 0
		.amdhsa_system_sgpr_workgroup_info 0
		.amdhsa_system_vgpr_workitem_id 0
		.amdhsa_next_free_vgpr 14
		.amdhsa_next_free_sgpr 7
		.amdhsa_named_barrier_count 0
		.amdhsa_reserve_vcc 1
		.amdhsa_float_round_mode_32 0
		.amdhsa_float_round_mode_16_64 0
		.amdhsa_float_denorm_mode_32 3
		.amdhsa_float_denorm_mode_16_64 3
		.amdhsa_fp16_overflow 0
		.amdhsa_memory_ordered 1
		.amdhsa_forward_progress 1
		.amdhsa_inst_pref_size 12
		.amdhsa_round_robin_scheduling 0
		.amdhsa_exception_fp_ieee_invalid_op 0
		.amdhsa_exception_fp_denorm_src 0
		.amdhsa_exception_fp_ieee_div_zero 0
		.amdhsa_exception_fp_ieee_overflow 0
		.amdhsa_exception_fp_ieee_underflow 0
		.amdhsa_exception_fp_ieee_inexact 0
		.amdhsa_exception_int_div_zero 0
	.end_amdhsa_kernel
	.section	.text._ZN9rocsparseL13kernel_nrminfILj256E21rocsparse_complex_numIdEEEvmPKT0_PNS_15floating_traitsIS3_E6data_tEPKS8_,"axG",@progbits,_ZN9rocsparseL13kernel_nrminfILj256E21rocsparse_complex_numIdEEEvmPKT0_PNS_15floating_traitsIS3_E6data_tEPKS8_,comdat
.Lfunc_end101:
	.size	_ZN9rocsparseL13kernel_nrminfILj256E21rocsparse_complex_numIdEEEvmPKT0_PNS_15floating_traitsIS3_E6data_tEPKS8_, .Lfunc_end101-_ZN9rocsparseL13kernel_nrminfILj256E21rocsparse_complex_numIdEEEvmPKT0_PNS_15floating_traitsIS3_E6data_tEPKS8_
                                        ; -- End function
	.set _ZN9rocsparseL13kernel_nrminfILj256E21rocsparse_complex_numIdEEEvmPKT0_PNS_15floating_traitsIS3_E6data_tEPKS8_.num_vgpr, 14
	.set _ZN9rocsparseL13kernel_nrminfILj256E21rocsparse_complex_numIdEEEvmPKT0_PNS_15floating_traitsIS3_E6data_tEPKS8_.num_agpr, 0
	.set _ZN9rocsparseL13kernel_nrminfILj256E21rocsparse_complex_numIdEEEvmPKT0_PNS_15floating_traitsIS3_E6data_tEPKS8_.numbered_sgpr, 7
	.set _ZN9rocsparseL13kernel_nrminfILj256E21rocsparse_complex_numIdEEEvmPKT0_PNS_15floating_traitsIS3_E6data_tEPKS8_.num_named_barrier, 0
	.set _ZN9rocsparseL13kernel_nrminfILj256E21rocsparse_complex_numIdEEEvmPKT0_PNS_15floating_traitsIS3_E6data_tEPKS8_.private_seg_size, 0
	.set _ZN9rocsparseL13kernel_nrminfILj256E21rocsparse_complex_numIdEEEvmPKT0_PNS_15floating_traitsIS3_E6data_tEPKS8_.uses_vcc, 1
	.set _ZN9rocsparseL13kernel_nrminfILj256E21rocsparse_complex_numIdEEEvmPKT0_PNS_15floating_traitsIS3_E6data_tEPKS8_.uses_flat_scratch, 0
	.set _ZN9rocsparseL13kernel_nrminfILj256E21rocsparse_complex_numIdEEEvmPKT0_PNS_15floating_traitsIS3_E6data_tEPKS8_.has_dyn_sized_stack, 0
	.set _ZN9rocsparseL13kernel_nrminfILj256E21rocsparse_complex_numIdEEEvmPKT0_PNS_15floating_traitsIS3_E6data_tEPKS8_.has_recursion, 0
	.set _ZN9rocsparseL13kernel_nrminfILj256E21rocsparse_complex_numIdEEEvmPKT0_PNS_15floating_traitsIS3_E6data_tEPKS8_.has_indirect_call, 0
	.section	.AMDGPU.csdata,"",@progbits
; Kernel info:
; codeLenInByte = 1492
; TotalNumSgprs: 9
; NumVgprs: 14
; ScratchSize: 0
; MemoryBound: 1
; FloatMode: 240
; IeeeMode: 1
; LDSByteSize: 2048 bytes/workgroup (compile time only)
; SGPRBlocks: 0
; VGPRBlocks: 0
; NumSGPRsForWavesPerEU: 9
; NumVGPRsForWavesPerEU: 14
; NamedBarCnt: 0
; Occupancy: 16
; WaveLimiterHint : 0
; COMPUTE_PGM_RSRC2:SCRATCH_EN: 0
; COMPUTE_PGM_RSRC2:USER_SGPR: 2
; COMPUTE_PGM_RSRC2:TRAP_HANDLER: 0
; COMPUTE_PGM_RSRC2:TGID_X_EN: 1
; COMPUTE_PGM_RSRC2:TGID_Y_EN: 0
; COMPUTE_PGM_RSRC2:TGID_Z_EN: 0
; COMPUTE_PGM_RSRC2:TIDIG_COMP_CNT: 0
	.section	.AMDGPU.gpr_maximums,"",@progbits
	.set amdgpu.max_num_vgpr, 0
	.set amdgpu.max_num_agpr, 0
	.set amdgpu.max_num_sgpr, 0
	.section	.AMDGPU.csdata,"",@progbits
	.type	__hip_cuid_9ed4edbcafca5286,@object ; @__hip_cuid_9ed4edbcafca5286
	.section	.bss,"aw",@nobits
	.globl	__hip_cuid_9ed4edbcafca5286
__hip_cuid_9ed4edbcafca5286:
	.byte	0                               ; 0x0
	.size	__hip_cuid_9ed4edbcafca5286, 1

	.ident	"AMD clang version 22.0.0git (https://github.com/RadeonOpenCompute/llvm-project roc-7.2.4 26084 f58b06dce1f9c15707c5f808fd002e18c2accf7e)"
	.section	".note.GNU-stack","",@progbits
	.addrsig
	.addrsig_sym __hip_cuid_9ed4edbcafca5286
	.amdgpu_metadata
---
amdhsa.kernels:
  - .args:
      - .offset:         0
        .size:           4
        .value_kind:     by_value
      - .address_space:  global
        .offset:         8
        .size:           8
        .value_kind:     global_buffer
      - .offset:         16
        .size:           4
        .value_kind:     hidden_block_count_x
      - .offset:         20
        .size:           4
        .value_kind:     hidden_block_count_y
      - .offset:         24
        .size:           4
        .value_kind:     hidden_block_count_z
      - .offset:         28
        .size:           2
        .value_kind:     hidden_group_size_x
      - .offset:         30
        .size:           2
        .value_kind:     hidden_group_size_y
      - .offset:         32
        .size:           2
        .value_kind:     hidden_group_size_z
      - .offset:         34
        .size:           2
        .value_kind:     hidden_remainder_x
      - .offset:         36
        .size:           2
        .value_kind:     hidden_remainder_y
      - .offset:         38
        .size:           2
        .value_kind:     hidden_remainder_z
      - .offset:         56
        .size:           8
        .value_kind:     hidden_global_offset_x
      - .offset:         64
        .size:           8
        .value_kind:     hidden_global_offset_y
      - .offset:         72
        .size:           8
        .value_kind:     hidden_global_offset_z
      - .offset:         80
        .size:           2
        .value_kind:     hidden_grid_dims
    .group_segment_fixed_size: 0
    .kernarg_segment_align: 8
    .kernarg_segment_size: 272
    .language:       OpenCL C
    .language_version:
      - 2
      - 0
    .max_flat_workgroup_size: 1024
    .name:           _ZN9rocsparseL25kernel_set_identity_arrayILj1024EiiEEvT1_PT0_
    .private_segment_fixed_size: 0
    .sgpr_count:     7
    .sgpr_spill_count: 0
    .symbol:         _ZN9rocsparseL25kernel_set_identity_arrayILj1024EiiEEvT1_PT0_.kd
    .uniform_work_group_size: 1
    .uses_dynamic_stack: false
    .vgpr_count:     2
    .vgpr_spill_count: 0
    .wavefront_size: 32
  - .args:
      - .offset:         0
        .size:           4
        .value_kind:     by_value
      - .address_space:  global
        .offset:         8
        .size:           8
        .value_kind:     global_buffer
      - .address_space:  global
        .offset:         16
        .size:           8
        .value_kind:     global_buffer
      - .address_space:  global
        .offset:         24
        .size:           8
        .value_kind:     global_buffer
      - .offset:         32
        .size:           4
        .value_kind:     hidden_block_count_x
      - .offset:         36
        .size:           4
        .value_kind:     hidden_block_count_y
      - .offset:         40
        .size:           4
        .value_kind:     hidden_block_count_z
      - .offset:         44
        .size:           2
        .value_kind:     hidden_group_size_x
      - .offset:         46
        .size:           2
        .value_kind:     hidden_group_size_y
      - .offset:         48
        .size:           2
        .value_kind:     hidden_group_size_z
      - .offset:         50
        .size:           2
        .value_kind:     hidden_remainder_x
      - .offset:         52
        .size:           2
        .value_kind:     hidden_remainder_y
      - .offset:         54
        .size:           2
        .value_kind:     hidden_remainder_z
      - .offset:         72
        .size:           8
        .value_kind:     hidden_global_offset_x
      - .offset:         80
        .size:           8
        .value_kind:     hidden_global_offset_y
      - .offset:         88
        .size:           8
        .value_kind:     hidden_global_offset_z
      - .offset:         96
        .size:           2
        .value_kind:     hidden_grid_dims
    .group_segment_fixed_size: 0
    .kernarg_segment_align: 8
    .kernarg_segment_size: 288
    .language:       OpenCL C
    .language_version:
      - 2
      - 0
    .max_flat_workgroup_size: 1024
    .name:           _ZN9rocsparseL25kernel_get_permuted_arrayILj1024EiiEEvT1_PKT0_PS2_PKS1_
    .private_segment_fixed_size: 0
    .sgpr_count:     8
    .sgpr_spill_count: 0
    .symbol:         _ZN9rocsparseL25kernel_get_permuted_arrayILj1024EiiEEvT1_PKT0_PS2_PKS1_.kd
    .uniform_work_group_size: 1
    .uses_dynamic_stack: false
    .vgpr_count:     2
    .vgpr_spill_count: 0
    .wavefront_size: 32
  - .args:
      - .offset:         0
        .size:           4
        .value_kind:     by_value
      - .address_space:  global
        .offset:         8
        .size:           8
        .value_kind:     global_buffer
      - .address_space:  global
        .offset:         16
        .size:           8
        .value_kind:     global_buffer
      - .address_space:  global
        .offset:         24
        .size:           8
        .value_kind:     global_buffer
      - .offset:         32
        .size:           4
        .value_kind:     hidden_block_count_x
      - .offset:         36
        .size:           4
        .value_kind:     hidden_block_count_y
      - .offset:         40
        .size:           4
        .value_kind:     hidden_block_count_z
      - .offset:         44
        .size:           2
        .value_kind:     hidden_group_size_x
      - .offset:         46
        .size:           2
        .value_kind:     hidden_group_size_y
      - .offset:         48
        .size:           2
        .value_kind:     hidden_group_size_z
      - .offset:         50
        .size:           2
        .value_kind:     hidden_remainder_x
      - .offset:         52
        .size:           2
        .value_kind:     hidden_remainder_y
      - .offset:         54
        .size:           2
        .value_kind:     hidden_remainder_z
      - .offset:         72
        .size:           8
        .value_kind:     hidden_global_offset_x
      - .offset:         80
        .size:           8
        .value_kind:     hidden_global_offset_y
      - .offset:         88
        .size:           8
        .value_kind:     hidden_global_offset_z
      - .offset:         96
        .size:           2
        .value_kind:     hidden_grid_dims
    .group_segment_fixed_size: 0
    .kernarg_segment_align: 8
    .kernarg_segment_size: 288
    .language:       OpenCL C
    .language_version:
      - 2
      - 0
    .max_flat_workgroup_size: 1024
    .name:           _ZN9rocsparseL25kernel_set_permuted_arrayILj1024EiiEEvT1_PT0_PKS2_PKS1_
    .private_segment_fixed_size: 0
    .sgpr_count:     8
    .sgpr_spill_count: 0
    .symbol:         _ZN9rocsparseL25kernel_set_permuted_arrayILj1024EiiEEvT1_PT0_PKS2_PKS1_.kd
    .uniform_work_group_size: 1
    .uses_dynamic_stack: false
    .vgpr_count:     3
    .vgpr_spill_count: 0
    .wavefront_size: 32
  - .args:
      - .offset:         0
        .size:           4
        .value_kind:     by_value
      - .address_space:  global
        .offset:         8
        .size:           8
        .value_kind:     global_buffer
      - .offset:         16
        .size:           4
        .value_kind:     hidden_block_count_x
      - .offset:         20
        .size:           4
        .value_kind:     hidden_block_count_y
      - .offset:         24
        .size:           4
        .value_kind:     hidden_block_count_z
      - .offset:         28
        .size:           2
        .value_kind:     hidden_group_size_x
      - .offset:         30
        .size:           2
        .value_kind:     hidden_group_size_y
      - .offset:         32
        .size:           2
        .value_kind:     hidden_group_size_z
      - .offset:         34
        .size:           2
        .value_kind:     hidden_remainder_x
      - .offset:         36
        .size:           2
        .value_kind:     hidden_remainder_y
      - .offset:         38
        .size:           2
        .value_kind:     hidden_remainder_z
      - .offset:         56
        .size:           8
        .value_kind:     hidden_global_offset_x
      - .offset:         64
        .size:           8
        .value_kind:     hidden_global_offset_y
      - .offset:         72
        .size:           8
        .value_kind:     hidden_global_offset_z
      - .offset:         80
        .size:           2
        .value_kind:     hidden_grid_dims
    .group_segment_fixed_size: 0
    .kernarg_segment_align: 8
    .kernarg_segment_size: 272
    .language:       OpenCL C
    .language_version:
      - 2
      - 0
    .max_flat_workgroup_size: 1024
    .name:           _ZN9rocsparseL25kernel_set_identity_arrayILj1024EfiEEvT1_PT0_
    .private_segment_fixed_size: 0
    .sgpr_count:     7
    .sgpr_spill_count: 0
    .symbol:         _ZN9rocsparseL25kernel_set_identity_arrayILj1024EfiEEvT1_PT0_.kd
    .uniform_work_group_size: 1
    .uses_dynamic_stack: false
    .vgpr_count:     2
    .vgpr_spill_count: 0
    .wavefront_size: 32
  - .args:
      - .offset:         0
        .size:           4
        .value_kind:     by_value
      - .address_space:  global
        .offset:         8
        .size:           8
        .value_kind:     global_buffer
      - .address_space:  global
        .offset:         16
        .size:           8
        .value_kind:     global_buffer
      - .address_space:  global
        .offset:         24
        .size:           8
        .value_kind:     global_buffer
      - .offset:         32
        .size:           4
        .value_kind:     hidden_block_count_x
      - .offset:         36
        .size:           4
        .value_kind:     hidden_block_count_y
      - .offset:         40
        .size:           4
        .value_kind:     hidden_block_count_z
      - .offset:         44
        .size:           2
        .value_kind:     hidden_group_size_x
      - .offset:         46
        .size:           2
        .value_kind:     hidden_group_size_y
      - .offset:         48
        .size:           2
        .value_kind:     hidden_group_size_z
      - .offset:         50
        .size:           2
        .value_kind:     hidden_remainder_x
      - .offset:         52
        .size:           2
        .value_kind:     hidden_remainder_y
      - .offset:         54
        .size:           2
        .value_kind:     hidden_remainder_z
      - .offset:         72
        .size:           8
        .value_kind:     hidden_global_offset_x
      - .offset:         80
        .size:           8
        .value_kind:     hidden_global_offset_y
      - .offset:         88
        .size:           8
        .value_kind:     hidden_global_offset_z
      - .offset:         96
        .size:           2
        .value_kind:     hidden_grid_dims
    .group_segment_fixed_size: 0
    .kernarg_segment_align: 8
    .kernarg_segment_size: 288
    .language:       OpenCL C
    .language_version:
      - 2
      - 0
    .max_flat_workgroup_size: 1024
    .name:           _ZN9rocsparseL25kernel_get_permuted_arrayILj1024EfiEEvT1_PKT0_PS2_PKS1_
    .private_segment_fixed_size: 0
    .sgpr_count:     8
    .sgpr_spill_count: 0
    .symbol:         _ZN9rocsparseL25kernel_get_permuted_arrayILj1024EfiEEvT1_PKT0_PS2_PKS1_.kd
    .uniform_work_group_size: 1
    .uses_dynamic_stack: false
    .vgpr_count:     2
    .vgpr_spill_count: 0
    .wavefront_size: 32
  - .args:
      - .offset:         0
        .size:           4
        .value_kind:     by_value
      - .address_space:  global
        .offset:         8
        .size:           8
        .value_kind:     global_buffer
      - .address_space:  global
        .offset:         16
        .size:           8
        .value_kind:     global_buffer
      - .address_space:  global
        .offset:         24
        .size:           8
        .value_kind:     global_buffer
      - .offset:         32
        .size:           4
        .value_kind:     hidden_block_count_x
      - .offset:         36
        .size:           4
        .value_kind:     hidden_block_count_y
      - .offset:         40
        .size:           4
        .value_kind:     hidden_block_count_z
      - .offset:         44
        .size:           2
        .value_kind:     hidden_group_size_x
      - .offset:         46
        .size:           2
        .value_kind:     hidden_group_size_y
      - .offset:         48
        .size:           2
        .value_kind:     hidden_group_size_z
      - .offset:         50
        .size:           2
        .value_kind:     hidden_remainder_x
      - .offset:         52
        .size:           2
        .value_kind:     hidden_remainder_y
      - .offset:         54
        .size:           2
        .value_kind:     hidden_remainder_z
      - .offset:         72
        .size:           8
        .value_kind:     hidden_global_offset_x
      - .offset:         80
        .size:           8
        .value_kind:     hidden_global_offset_y
      - .offset:         88
        .size:           8
        .value_kind:     hidden_global_offset_z
      - .offset:         96
        .size:           2
        .value_kind:     hidden_grid_dims
    .group_segment_fixed_size: 0
    .kernarg_segment_align: 8
    .kernarg_segment_size: 288
    .language:       OpenCL C
    .language_version:
      - 2
      - 0
    .max_flat_workgroup_size: 1024
    .name:           _ZN9rocsparseL25kernel_set_permuted_arrayILj1024EfiEEvT1_PT0_PKS2_PKS1_
    .private_segment_fixed_size: 0
    .sgpr_count:     8
    .sgpr_spill_count: 0
    .symbol:         _ZN9rocsparseL25kernel_set_permuted_arrayILj1024EfiEEvT1_PT0_PKS2_PKS1_.kd
    .uniform_work_group_size: 1
    .uses_dynamic_stack: false
    .vgpr_count:     3
    .vgpr_spill_count: 0
    .wavefront_size: 32
  - .args:
      - .offset:         0
        .size:           4
        .value_kind:     by_value
      - .address_space:  global
        .offset:         8
        .size:           8
        .value_kind:     global_buffer
      - .offset:         16
        .size:           4
        .value_kind:     hidden_block_count_x
      - .offset:         20
        .size:           4
        .value_kind:     hidden_block_count_y
      - .offset:         24
        .size:           4
        .value_kind:     hidden_block_count_z
      - .offset:         28
        .size:           2
        .value_kind:     hidden_group_size_x
      - .offset:         30
        .size:           2
        .value_kind:     hidden_group_size_y
      - .offset:         32
        .size:           2
        .value_kind:     hidden_group_size_z
      - .offset:         34
        .size:           2
        .value_kind:     hidden_remainder_x
      - .offset:         36
        .size:           2
        .value_kind:     hidden_remainder_y
      - .offset:         38
        .size:           2
        .value_kind:     hidden_remainder_z
      - .offset:         56
        .size:           8
        .value_kind:     hidden_global_offset_x
      - .offset:         64
        .size:           8
        .value_kind:     hidden_global_offset_y
      - .offset:         72
        .size:           8
        .value_kind:     hidden_global_offset_z
      - .offset:         80
        .size:           2
        .value_kind:     hidden_grid_dims
    .group_segment_fixed_size: 0
    .kernarg_segment_align: 8
    .kernarg_segment_size: 272
    .language:       OpenCL C
    .language_version:
      - 2
      - 0
    .max_flat_workgroup_size: 1024
    .name:           _ZN9rocsparseL25kernel_set_identity_arrayILj1024EdiEEvT1_PT0_
    .private_segment_fixed_size: 0
    .sgpr_count:     7
    .sgpr_spill_count: 0
    .symbol:         _ZN9rocsparseL25kernel_set_identity_arrayILj1024EdiEEvT1_PT0_.kd
    .uniform_work_group_size: 1
    .uses_dynamic_stack: false
    .vgpr_count:     4
    .vgpr_spill_count: 0
    .wavefront_size: 32
  - .args:
      - .offset:         0
        .size:           4
        .value_kind:     by_value
      - .address_space:  global
        .offset:         8
        .size:           8
        .value_kind:     global_buffer
      - .address_space:  global
        .offset:         16
        .size:           8
        .value_kind:     global_buffer
      - .address_space:  global
        .offset:         24
        .size:           8
        .value_kind:     global_buffer
      - .offset:         32
        .size:           4
        .value_kind:     hidden_block_count_x
      - .offset:         36
        .size:           4
        .value_kind:     hidden_block_count_y
      - .offset:         40
        .size:           4
        .value_kind:     hidden_block_count_z
      - .offset:         44
        .size:           2
        .value_kind:     hidden_group_size_x
      - .offset:         46
        .size:           2
        .value_kind:     hidden_group_size_y
      - .offset:         48
        .size:           2
        .value_kind:     hidden_group_size_z
      - .offset:         50
        .size:           2
        .value_kind:     hidden_remainder_x
      - .offset:         52
        .size:           2
        .value_kind:     hidden_remainder_y
      - .offset:         54
        .size:           2
        .value_kind:     hidden_remainder_z
      - .offset:         72
        .size:           8
        .value_kind:     hidden_global_offset_x
      - .offset:         80
        .size:           8
        .value_kind:     hidden_global_offset_y
      - .offset:         88
        .size:           8
        .value_kind:     hidden_global_offset_z
      - .offset:         96
        .size:           2
        .value_kind:     hidden_grid_dims
    .group_segment_fixed_size: 0
    .kernarg_segment_align: 8
    .kernarg_segment_size: 288
    .language:       OpenCL C
    .language_version:
      - 2
      - 0
    .max_flat_workgroup_size: 1024
    .name:           _ZN9rocsparseL25kernel_get_permuted_arrayILj1024EdiEEvT1_PKT0_PS2_PKS1_
    .private_segment_fixed_size: 0
    .sgpr_count:     8
    .sgpr_spill_count: 0
    .symbol:         _ZN9rocsparseL25kernel_get_permuted_arrayILj1024EdiEEvT1_PKT0_PS2_PKS1_.kd
    .uniform_work_group_size: 1
    .uses_dynamic_stack: false
    .vgpr_count:     4
    .vgpr_spill_count: 0
    .wavefront_size: 32
  - .args:
      - .offset:         0
        .size:           4
        .value_kind:     by_value
      - .address_space:  global
        .offset:         8
        .size:           8
        .value_kind:     global_buffer
      - .address_space:  global
        .offset:         16
        .size:           8
        .value_kind:     global_buffer
      - .address_space:  global
        .offset:         24
        .size:           8
        .value_kind:     global_buffer
      - .offset:         32
        .size:           4
        .value_kind:     hidden_block_count_x
      - .offset:         36
        .size:           4
        .value_kind:     hidden_block_count_y
      - .offset:         40
        .size:           4
        .value_kind:     hidden_block_count_z
      - .offset:         44
        .size:           2
        .value_kind:     hidden_group_size_x
      - .offset:         46
        .size:           2
        .value_kind:     hidden_group_size_y
      - .offset:         48
        .size:           2
        .value_kind:     hidden_group_size_z
      - .offset:         50
        .size:           2
        .value_kind:     hidden_remainder_x
      - .offset:         52
        .size:           2
        .value_kind:     hidden_remainder_y
      - .offset:         54
        .size:           2
        .value_kind:     hidden_remainder_z
      - .offset:         72
        .size:           8
        .value_kind:     hidden_global_offset_x
      - .offset:         80
        .size:           8
        .value_kind:     hidden_global_offset_y
      - .offset:         88
        .size:           8
        .value_kind:     hidden_global_offset_z
      - .offset:         96
        .size:           2
        .value_kind:     hidden_grid_dims
    .group_segment_fixed_size: 0
    .kernarg_segment_align: 8
    .kernarg_segment_size: 288
    .language:       OpenCL C
    .language_version:
      - 2
      - 0
    .max_flat_workgroup_size: 1024
    .name:           _ZN9rocsparseL25kernel_set_permuted_arrayILj1024EdiEEvT1_PT0_PKS2_PKS1_
    .private_segment_fixed_size: 0
    .sgpr_count:     8
    .sgpr_spill_count: 0
    .symbol:         _ZN9rocsparseL25kernel_set_permuted_arrayILj1024EdiEEvT1_PT0_PKS2_PKS1_.kd
    .uniform_work_group_size: 1
    .uses_dynamic_stack: false
    .vgpr_count:     4
    .vgpr_spill_count: 0
    .wavefront_size: 32
  - .args:
      - .offset:         0
        .size:           4
        .value_kind:     by_value
      - .address_space:  global
        .offset:         8
        .size:           8
        .value_kind:     global_buffer
      - .offset:         16
        .size:           4
        .value_kind:     hidden_block_count_x
      - .offset:         20
        .size:           4
        .value_kind:     hidden_block_count_y
      - .offset:         24
        .size:           4
        .value_kind:     hidden_block_count_z
      - .offset:         28
        .size:           2
        .value_kind:     hidden_group_size_x
      - .offset:         30
        .size:           2
        .value_kind:     hidden_group_size_y
      - .offset:         32
        .size:           2
        .value_kind:     hidden_group_size_z
      - .offset:         34
        .size:           2
        .value_kind:     hidden_remainder_x
      - .offset:         36
        .size:           2
        .value_kind:     hidden_remainder_y
      - .offset:         38
        .size:           2
        .value_kind:     hidden_remainder_z
      - .offset:         56
        .size:           8
        .value_kind:     hidden_global_offset_x
      - .offset:         64
        .size:           8
        .value_kind:     hidden_global_offset_y
      - .offset:         72
        .size:           8
        .value_kind:     hidden_global_offset_z
      - .offset:         80
        .size:           2
        .value_kind:     hidden_grid_dims
    .group_segment_fixed_size: 0
    .kernarg_segment_align: 8
    .kernarg_segment_size: 272
    .language:       OpenCL C
    .language_version:
      - 2
      - 0
    .max_flat_workgroup_size: 1024
    .name:           _ZN9rocsparseL25kernel_set_identity_arrayILj1024E21rocsparse_complex_numIfEiEEvT1_PT0_
    .private_segment_fixed_size: 0
    .sgpr_count:     7
    .sgpr_spill_count: 0
    .symbol:         _ZN9rocsparseL25kernel_set_identity_arrayILj1024E21rocsparse_complex_numIfEiEEvT1_PT0_.kd
    .uniform_work_group_size: 1
    .uses_dynamic_stack: false
    .vgpr_count:     4
    .vgpr_spill_count: 0
    .wavefront_size: 32
  - .args:
      - .offset:         0
        .size:           4
        .value_kind:     by_value
      - .address_space:  global
        .offset:         8
        .size:           8
        .value_kind:     global_buffer
      - .address_space:  global
        .offset:         16
        .size:           8
        .value_kind:     global_buffer
      - .address_space:  global
        .offset:         24
        .size:           8
        .value_kind:     global_buffer
      - .offset:         32
        .size:           4
        .value_kind:     hidden_block_count_x
      - .offset:         36
        .size:           4
        .value_kind:     hidden_block_count_y
      - .offset:         40
        .size:           4
        .value_kind:     hidden_block_count_z
      - .offset:         44
        .size:           2
        .value_kind:     hidden_group_size_x
      - .offset:         46
        .size:           2
        .value_kind:     hidden_group_size_y
      - .offset:         48
        .size:           2
        .value_kind:     hidden_group_size_z
      - .offset:         50
        .size:           2
        .value_kind:     hidden_remainder_x
      - .offset:         52
        .size:           2
        .value_kind:     hidden_remainder_y
      - .offset:         54
        .size:           2
        .value_kind:     hidden_remainder_z
      - .offset:         72
        .size:           8
        .value_kind:     hidden_global_offset_x
      - .offset:         80
        .size:           8
        .value_kind:     hidden_global_offset_y
      - .offset:         88
        .size:           8
        .value_kind:     hidden_global_offset_z
      - .offset:         96
        .size:           2
        .value_kind:     hidden_grid_dims
    .group_segment_fixed_size: 0
    .kernarg_segment_align: 8
    .kernarg_segment_size: 288
    .language:       OpenCL C
    .language_version:
      - 2
      - 0
    .max_flat_workgroup_size: 1024
    .name:           _ZN9rocsparseL25kernel_get_permuted_arrayILj1024E21rocsparse_complex_numIfEiEEvT1_PKT0_PS4_PKS3_
    .private_segment_fixed_size: 0
    .sgpr_count:     8
    .sgpr_spill_count: 0
    .symbol:         _ZN9rocsparseL25kernel_get_permuted_arrayILj1024E21rocsparse_complex_numIfEiEEvT1_PKT0_PS4_PKS3_.kd
    .uniform_work_group_size: 1
    .uses_dynamic_stack: false
    .vgpr_count:     4
    .vgpr_spill_count: 0
    .wavefront_size: 32
  - .args:
      - .offset:         0
        .size:           4
        .value_kind:     by_value
      - .address_space:  global
        .offset:         8
        .size:           8
        .value_kind:     global_buffer
      - .address_space:  global
        .offset:         16
        .size:           8
        .value_kind:     global_buffer
      - .address_space:  global
        .offset:         24
        .size:           8
        .value_kind:     global_buffer
      - .offset:         32
        .size:           4
        .value_kind:     hidden_block_count_x
      - .offset:         36
        .size:           4
        .value_kind:     hidden_block_count_y
      - .offset:         40
        .size:           4
        .value_kind:     hidden_block_count_z
      - .offset:         44
        .size:           2
        .value_kind:     hidden_group_size_x
      - .offset:         46
        .size:           2
        .value_kind:     hidden_group_size_y
      - .offset:         48
        .size:           2
        .value_kind:     hidden_group_size_z
      - .offset:         50
        .size:           2
        .value_kind:     hidden_remainder_x
      - .offset:         52
        .size:           2
        .value_kind:     hidden_remainder_y
      - .offset:         54
        .size:           2
        .value_kind:     hidden_remainder_z
      - .offset:         72
        .size:           8
        .value_kind:     hidden_global_offset_x
      - .offset:         80
        .size:           8
        .value_kind:     hidden_global_offset_y
      - .offset:         88
        .size:           8
        .value_kind:     hidden_global_offset_z
      - .offset:         96
        .size:           2
        .value_kind:     hidden_grid_dims
    .group_segment_fixed_size: 0
    .kernarg_segment_align: 8
    .kernarg_segment_size: 288
    .language:       OpenCL C
    .language_version:
      - 2
      - 0
    .max_flat_workgroup_size: 1024
    .name:           _ZN9rocsparseL25kernel_set_permuted_arrayILj1024E21rocsparse_complex_numIfEiEEvT1_PT0_PKS4_PKS3_
    .private_segment_fixed_size: 0
    .sgpr_count:     8
    .sgpr_spill_count: 0
    .symbol:         _ZN9rocsparseL25kernel_set_permuted_arrayILj1024E21rocsparse_complex_numIfEiEEvT1_PT0_PKS4_PKS3_.kd
    .uniform_work_group_size: 1
    .uses_dynamic_stack: false
    .vgpr_count:     4
    .vgpr_spill_count: 0
    .wavefront_size: 32
  - .args:
      - .offset:         0
        .size:           4
        .value_kind:     by_value
      - .address_space:  global
        .offset:         8
        .size:           8
        .value_kind:     global_buffer
      - .offset:         16
        .size:           4
        .value_kind:     hidden_block_count_x
      - .offset:         20
        .size:           4
        .value_kind:     hidden_block_count_y
      - .offset:         24
        .size:           4
        .value_kind:     hidden_block_count_z
      - .offset:         28
        .size:           2
        .value_kind:     hidden_group_size_x
      - .offset:         30
        .size:           2
        .value_kind:     hidden_group_size_y
      - .offset:         32
        .size:           2
        .value_kind:     hidden_group_size_z
      - .offset:         34
        .size:           2
        .value_kind:     hidden_remainder_x
      - .offset:         36
        .size:           2
        .value_kind:     hidden_remainder_y
      - .offset:         38
        .size:           2
        .value_kind:     hidden_remainder_z
      - .offset:         56
        .size:           8
        .value_kind:     hidden_global_offset_x
      - .offset:         64
        .size:           8
        .value_kind:     hidden_global_offset_y
      - .offset:         72
        .size:           8
        .value_kind:     hidden_global_offset_z
      - .offset:         80
        .size:           2
        .value_kind:     hidden_grid_dims
    .group_segment_fixed_size: 0
    .kernarg_segment_align: 8
    .kernarg_segment_size: 272
    .language:       OpenCL C
    .language_version:
      - 2
      - 0
    .max_flat_workgroup_size: 1024
    .name:           _ZN9rocsparseL25kernel_set_identity_arrayILj1024E21rocsparse_complex_numIdEiEEvT1_PT0_
    .private_segment_fixed_size: 0
    .sgpr_count:     7
    .sgpr_spill_count: 0
    .symbol:         _ZN9rocsparseL25kernel_set_identity_arrayILj1024E21rocsparse_complex_numIdEiEEvT1_PT0_.kd
    .uniform_work_group_size: 1
    .uses_dynamic_stack: false
    .vgpr_count:     6
    .vgpr_spill_count: 0
    .wavefront_size: 32
  - .args:
      - .offset:         0
        .size:           4
        .value_kind:     by_value
      - .address_space:  global
        .offset:         8
        .size:           8
        .value_kind:     global_buffer
      - .address_space:  global
        .offset:         16
        .size:           8
        .value_kind:     global_buffer
      - .address_space:  global
        .offset:         24
        .size:           8
        .value_kind:     global_buffer
      - .offset:         32
        .size:           4
        .value_kind:     hidden_block_count_x
      - .offset:         36
        .size:           4
        .value_kind:     hidden_block_count_y
      - .offset:         40
        .size:           4
        .value_kind:     hidden_block_count_z
      - .offset:         44
        .size:           2
        .value_kind:     hidden_group_size_x
      - .offset:         46
        .size:           2
        .value_kind:     hidden_group_size_y
      - .offset:         48
        .size:           2
        .value_kind:     hidden_group_size_z
      - .offset:         50
        .size:           2
        .value_kind:     hidden_remainder_x
      - .offset:         52
        .size:           2
        .value_kind:     hidden_remainder_y
      - .offset:         54
        .size:           2
        .value_kind:     hidden_remainder_z
      - .offset:         72
        .size:           8
        .value_kind:     hidden_global_offset_x
      - .offset:         80
        .size:           8
        .value_kind:     hidden_global_offset_y
      - .offset:         88
        .size:           8
        .value_kind:     hidden_global_offset_z
      - .offset:         96
        .size:           2
        .value_kind:     hidden_grid_dims
    .group_segment_fixed_size: 0
    .kernarg_segment_align: 8
    .kernarg_segment_size: 288
    .language:       OpenCL C
    .language_version:
      - 2
      - 0
    .max_flat_workgroup_size: 1024
    .name:           _ZN9rocsparseL25kernel_get_permuted_arrayILj1024E21rocsparse_complex_numIdEiEEvT1_PKT0_PS4_PKS3_
    .private_segment_fixed_size: 0
    .sgpr_count:     8
    .sgpr_spill_count: 0
    .symbol:         _ZN9rocsparseL25kernel_get_permuted_arrayILj1024E21rocsparse_complex_numIdEiEEvT1_PKT0_PS4_PKS3_.kd
    .uniform_work_group_size: 1
    .uses_dynamic_stack: false
    .vgpr_count:     6
    .vgpr_spill_count: 0
    .wavefront_size: 32
  - .args:
      - .offset:         0
        .size:           4
        .value_kind:     by_value
      - .address_space:  global
        .offset:         8
        .size:           8
        .value_kind:     global_buffer
      - .address_space:  global
        .offset:         16
        .size:           8
        .value_kind:     global_buffer
      - .address_space:  global
        .offset:         24
        .size:           8
        .value_kind:     global_buffer
      - .offset:         32
        .size:           4
        .value_kind:     hidden_block_count_x
      - .offset:         36
        .size:           4
        .value_kind:     hidden_block_count_y
      - .offset:         40
        .size:           4
        .value_kind:     hidden_block_count_z
      - .offset:         44
        .size:           2
        .value_kind:     hidden_group_size_x
      - .offset:         46
        .size:           2
        .value_kind:     hidden_group_size_y
      - .offset:         48
        .size:           2
        .value_kind:     hidden_group_size_z
      - .offset:         50
        .size:           2
        .value_kind:     hidden_remainder_x
      - .offset:         52
        .size:           2
        .value_kind:     hidden_remainder_y
      - .offset:         54
        .size:           2
        .value_kind:     hidden_remainder_z
      - .offset:         72
        .size:           8
        .value_kind:     hidden_global_offset_x
      - .offset:         80
        .size:           8
        .value_kind:     hidden_global_offset_y
      - .offset:         88
        .size:           8
        .value_kind:     hidden_global_offset_z
      - .offset:         96
        .size:           2
        .value_kind:     hidden_grid_dims
    .group_segment_fixed_size: 0
    .kernarg_segment_align: 8
    .kernarg_segment_size: 288
    .language:       OpenCL C
    .language_version:
      - 2
      - 0
    .max_flat_workgroup_size: 1024
    .name:           _ZN9rocsparseL25kernel_set_permuted_arrayILj1024E21rocsparse_complex_numIdEiEEvT1_PT0_PKS4_PKS3_
    .private_segment_fixed_size: 0
    .sgpr_count:     8
    .sgpr_spill_count: 0
    .symbol:         _ZN9rocsparseL25kernel_set_permuted_arrayILj1024E21rocsparse_complex_numIdEiEEvT1_PT0_PKS4_PKS3_.kd
    .uniform_work_group_size: 1
    .uses_dynamic_stack: false
    .vgpr_count:     6
    .vgpr_spill_count: 0
    .wavefront_size: 32
  - .args:
      - .offset:         0
        .size:           4
        .value_kind:     by_value
      - .address_space:  global
        .offset:         8
        .size:           8
        .value_kind:     global_buffer
      - .offset:         16
        .size:           4
        .value_kind:     hidden_block_count_x
      - .offset:         20
        .size:           4
        .value_kind:     hidden_block_count_y
      - .offset:         24
        .size:           4
        .value_kind:     hidden_block_count_z
      - .offset:         28
        .size:           2
        .value_kind:     hidden_group_size_x
      - .offset:         30
        .size:           2
        .value_kind:     hidden_group_size_y
      - .offset:         32
        .size:           2
        .value_kind:     hidden_group_size_z
      - .offset:         34
        .size:           2
        .value_kind:     hidden_remainder_x
      - .offset:         36
        .size:           2
        .value_kind:     hidden_remainder_y
      - .offset:         38
        .size:           2
        .value_kind:     hidden_remainder_z
      - .offset:         56
        .size:           8
        .value_kind:     hidden_global_offset_x
      - .offset:         64
        .size:           8
        .value_kind:     hidden_global_offset_y
      - .offset:         72
        .size:           8
        .value_kind:     hidden_global_offset_z
      - .offset:         80
        .size:           2
        .value_kind:     hidden_grid_dims
    .group_segment_fixed_size: 0
    .kernarg_segment_align: 8
    .kernarg_segment_size: 272
    .language:       OpenCL C
    .language_version:
      - 2
      - 0
    .max_flat_workgroup_size: 256
    .name:           _ZN9rocsparseL25kernel_set_identity_arrayILj256EfiEEvT1_PT0_
    .private_segment_fixed_size: 0
    .sgpr_count:     7
    .sgpr_spill_count: 0
    .symbol:         _ZN9rocsparseL25kernel_set_identity_arrayILj256EfiEEvT1_PT0_.kd
    .uniform_work_group_size: 1
    .uses_dynamic_stack: false
    .vgpr_count:     2
    .vgpr_spill_count: 0
    .wavefront_size: 32
  - .args:
      - .offset:         0
        .size:           4
        .value_kind:     by_value
      - .address_space:  global
        .offset:         8
        .size:           8
        .value_kind:     global_buffer
      - .address_space:  global
        .offset:         16
        .size:           8
        .value_kind:     global_buffer
      - .address_space:  global
        .offset:         24
        .size:           8
        .value_kind:     global_buffer
      - .offset:         32
        .size:           4
        .value_kind:     hidden_block_count_x
      - .offset:         36
        .size:           4
        .value_kind:     hidden_block_count_y
      - .offset:         40
        .size:           4
        .value_kind:     hidden_block_count_z
      - .offset:         44
        .size:           2
        .value_kind:     hidden_group_size_x
      - .offset:         46
        .size:           2
        .value_kind:     hidden_group_size_y
      - .offset:         48
        .size:           2
        .value_kind:     hidden_group_size_z
      - .offset:         50
        .size:           2
        .value_kind:     hidden_remainder_x
      - .offset:         52
        .size:           2
        .value_kind:     hidden_remainder_y
      - .offset:         54
        .size:           2
        .value_kind:     hidden_remainder_z
      - .offset:         72
        .size:           8
        .value_kind:     hidden_global_offset_x
      - .offset:         80
        .size:           8
        .value_kind:     hidden_global_offset_y
      - .offset:         88
        .size:           8
        .value_kind:     hidden_global_offset_z
      - .offset:         96
        .size:           2
        .value_kind:     hidden_grid_dims
    .group_segment_fixed_size: 0
    .kernarg_segment_align: 8
    .kernarg_segment_size: 288
    .language:       OpenCL C
    .language_version:
      - 2
      - 0
    .max_flat_workgroup_size: 256
    .name:           _ZN9rocsparseL25kernel_get_permuted_arrayILj256EfiEEvT1_PKT0_PS2_PKS1_
    .private_segment_fixed_size: 0
    .sgpr_count:     8
    .sgpr_spill_count: 0
    .symbol:         _ZN9rocsparseL25kernel_get_permuted_arrayILj256EfiEEvT1_PKT0_PS2_PKS1_.kd
    .uniform_work_group_size: 1
    .uses_dynamic_stack: false
    .vgpr_count:     2
    .vgpr_spill_count: 0
    .wavefront_size: 32
  - .args:
      - .offset:         0
        .size:           4
        .value_kind:     by_value
      - .address_space:  global
        .offset:         8
        .size:           8
        .value_kind:     global_buffer
      - .address_space:  global
        .offset:         16
        .size:           8
        .value_kind:     global_buffer
      - .address_space:  global
        .offset:         24
        .size:           8
        .value_kind:     global_buffer
      - .offset:         32
        .size:           4
        .value_kind:     hidden_block_count_x
      - .offset:         36
        .size:           4
        .value_kind:     hidden_block_count_y
      - .offset:         40
        .size:           4
        .value_kind:     hidden_block_count_z
      - .offset:         44
        .size:           2
        .value_kind:     hidden_group_size_x
      - .offset:         46
        .size:           2
        .value_kind:     hidden_group_size_y
      - .offset:         48
        .size:           2
        .value_kind:     hidden_group_size_z
      - .offset:         50
        .size:           2
        .value_kind:     hidden_remainder_x
      - .offset:         52
        .size:           2
        .value_kind:     hidden_remainder_y
      - .offset:         54
        .size:           2
        .value_kind:     hidden_remainder_z
      - .offset:         72
        .size:           8
        .value_kind:     hidden_global_offset_x
      - .offset:         80
        .size:           8
        .value_kind:     hidden_global_offset_y
      - .offset:         88
        .size:           8
        .value_kind:     hidden_global_offset_z
      - .offset:         96
        .size:           2
        .value_kind:     hidden_grid_dims
    .group_segment_fixed_size: 0
    .kernarg_segment_align: 8
    .kernarg_segment_size: 288
    .language:       OpenCL C
    .language_version:
      - 2
      - 0
    .max_flat_workgroup_size: 256
    .name:           _ZN9rocsparseL25kernel_set_permuted_arrayILj256EfiEEvT1_PT0_PKS2_PKS1_
    .private_segment_fixed_size: 0
    .sgpr_count:     8
    .sgpr_spill_count: 0
    .symbol:         _ZN9rocsparseL25kernel_set_permuted_arrayILj256EfiEEvT1_PT0_PKS2_PKS1_.kd
    .uniform_work_group_size: 1
    .uses_dynamic_stack: false
    .vgpr_count:     3
    .vgpr_spill_count: 0
    .wavefront_size: 32
  - .args:
      - .offset:         0
        .size:           4
        .value_kind:     by_value
      - .address_space:  global
        .offset:         8
        .size:           8
        .value_kind:     global_buffer
      - .offset:         16
        .size:           4
        .value_kind:     hidden_block_count_x
      - .offset:         20
        .size:           4
        .value_kind:     hidden_block_count_y
      - .offset:         24
        .size:           4
        .value_kind:     hidden_block_count_z
      - .offset:         28
        .size:           2
        .value_kind:     hidden_group_size_x
      - .offset:         30
        .size:           2
        .value_kind:     hidden_group_size_y
      - .offset:         32
        .size:           2
        .value_kind:     hidden_group_size_z
      - .offset:         34
        .size:           2
        .value_kind:     hidden_remainder_x
      - .offset:         36
        .size:           2
        .value_kind:     hidden_remainder_y
      - .offset:         38
        .size:           2
        .value_kind:     hidden_remainder_z
      - .offset:         56
        .size:           8
        .value_kind:     hidden_global_offset_x
      - .offset:         64
        .size:           8
        .value_kind:     hidden_global_offset_y
      - .offset:         72
        .size:           8
        .value_kind:     hidden_global_offset_z
      - .offset:         80
        .size:           2
        .value_kind:     hidden_grid_dims
    .group_segment_fixed_size: 0
    .kernarg_segment_align: 8
    .kernarg_segment_size: 272
    .language:       OpenCL C
    .language_version:
      - 2
      - 0
    .max_flat_workgroup_size: 256
    .name:           _ZN9rocsparseL25kernel_set_identity_arrayILj256EdiEEvT1_PT0_
    .private_segment_fixed_size: 0
    .sgpr_count:     7
    .sgpr_spill_count: 0
    .symbol:         _ZN9rocsparseL25kernel_set_identity_arrayILj256EdiEEvT1_PT0_.kd
    .uniform_work_group_size: 1
    .uses_dynamic_stack: false
    .vgpr_count:     4
    .vgpr_spill_count: 0
    .wavefront_size: 32
  - .args:
      - .offset:         0
        .size:           4
        .value_kind:     by_value
      - .address_space:  global
        .offset:         8
        .size:           8
        .value_kind:     global_buffer
      - .address_space:  global
        .offset:         16
        .size:           8
        .value_kind:     global_buffer
      - .address_space:  global
        .offset:         24
        .size:           8
        .value_kind:     global_buffer
      - .offset:         32
        .size:           4
        .value_kind:     hidden_block_count_x
      - .offset:         36
        .size:           4
        .value_kind:     hidden_block_count_y
      - .offset:         40
        .size:           4
        .value_kind:     hidden_block_count_z
      - .offset:         44
        .size:           2
        .value_kind:     hidden_group_size_x
      - .offset:         46
        .size:           2
        .value_kind:     hidden_group_size_y
      - .offset:         48
        .size:           2
        .value_kind:     hidden_group_size_z
      - .offset:         50
        .size:           2
        .value_kind:     hidden_remainder_x
      - .offset:         52
        .size:           2
        .value_kind:     hidden_remainder_y
      - .offset:         54
        .size:           2
        .value_kind:     hidden_remainder_z
      - .offset:         72
        .size:           8
        .value_kind:     hidden_global_offset_x
      - .offset:         80
        .size:           8
        .value_kind:     hidden_global_offset_y
      - .offset:         88
        .size:           8
        .value_kind:     hidden_global_offset_z
      - .offset:         96
        .size:           2
        .value_kind:     hidden_grid_dims
    .group_segment_fixed_size: 0
    .kernarg_segment_align: 8
    .kernarg_segment_size: 288
    .language:       OpenCL C
    .language_version:
      - 2
      - 0
    .max_flat_workgroup_size: 256
    .name:           _ZN9rocsparseL25kernel_get_permuted_arrayILj256EdiEEvT1_PKT0_PS2_PKS1_
    .private_segment_fixed_size: 0
    .sgpr_count:     8
    .sgpr_spill_count: 0
    .symbol:         _ZN9rocsparseL25kernel_get_permuted_arrayILj256EdiEEvT1_PKT0_PS2_PKS1_.kd
    .uniform_work_group_size: 1
    .uses_dynamic_stack: false
    .vgpr_count:     4
    .vgpr_spill_count: 0
    .wavefront_size: 32
  - .args:
      - .offset:         0
        .size:           4
        .value_kind:     by_value
      - .address_space:  global
        .offset:         8
        .size:           8
        .value_kind:     global_buffer
      - .address_space:  global
        .offset:         16
        .size:           8
        .value_kind:     global_buffer
      - .address_space:  global
        .offset:         24
        .size:           8
        .value_kind:     global_buffer
      - .offset:         32
        .size:           4
        .value_kind:     hidden_block_count_x
      - .offset:         36
        .size:           4
        .value_kind:     hidden_block_count_y
      - .offset:         40
        .size:           4
        .value_kind:     hidden_block_count_z
      - .offset:         44
        .size:           2
        .value_kind:     hidden_group_size_x
      - .offset:         46
        .size:           2
        .value_kind:     hidden_group_size_y
      - .offset:         48
        .size:           2
        .value_kind:     hidden_group_size_z
      - .offset:         50
        .size:           2
        .value_kind:     hidden_remainder_x
      - .offset:         52
        .size:           2
        .value_kind:     hidden_remainder_y
      - .offset:         54
        .size:           2
        .value_kind:     hidden_remainder_z
      - .offset:         72
        .size:           8
        .value_kind:     hidden_global_offset_x
      - .offset:         80
        .size:           8
        .value_kind:     hidden_global_offset_y
      - .offset:         88
        .size:           8
        .value_kind:     hidden_global_offset_z
      - .offset:         96
        .size:           2
        .value_kind:     hidden_grid_dims
    .group_segment_fixed_size: 0
    .kernarg_segment_align: 8
    .kernarg_segment_size: 288
    .language:       OpenCL C
    .language_version:
      - 2
      - 0
    .max_flat_workgroup_size: 256
    .name:           _ZN9rocsparseL25kernel_set_permuted_arrayILj256EdiEEvT1_PT0_PKS2_PKS1_
    .private_segment_fixed_size: 0
    .sgpr_count:     8
    .sgpr_spill_count: 0
    .symbol:         _ZN9rocsparseL25kernel_set_permuted_arrayILj256EdiEEvT1_PT0_PKS2_PKS1_.kd
    .uniform_work_group_size: 1
    .uses_dynamic_stack: false
    .vgpr_count:     4
    .vgpr_spill_count: 0
    .wavefront_size: 32
  - .args:
      - .offset:         0
        .size:           4
        .value_kind:     by_value
      - .address_space:  global
        .offset:         8
        .size:           8
        .value_kind:     global_buffer
      - .offset:         16
        .size:           4
        .value_kind:     hidden_block_count_x
      - .offset:         20
        .size:           4
        .value_kind:     hidden_block_count_y
      - .offset:         24
        .size:           4
        .value_kind:     hidden_block_count_z
      - .offset:         28
        .size:           2
        .value_kind:     hidden_group_size_x
      - .offset:         30
        .size:           2
        .value_kind:     hidden_group_size_y
      - .offset:         32
        .size:           2
        .value_kind:     hidden_group_size_z
      - .offset:         34
        .size:           2
        .value_kind:     hidden_remainder_x
      - .offset:         36
        .size:           2
        .value_kind:     hidden_remainder_y
      - .offset:         38
        .size:           2
        .value_kind:     hidden_remainder_z
      - .offset:         56
        .size:           8
        .value_kind:     hidden_global_offset_x
      - .offset:         64
        .size:           8
        .value_kind:     hidden_global_offset_y
      - .offset:         72
        .size:           8
        .value_kind:     hidden_global_offset_z
      - .offset:         80
        .size:           2
        .value_kind:     hidden_grid_dims
    .group_segment_fixed_size: 0
    .kernarg_segment_align: 8
    .kernarg_segment_size: 272
    .language:       OpenCL C
    .language_version:
      - 2
      - 0
    .max_flat_workgroup_size: 256
    .name:           _ZN9rocsparseL25kernel_set_identity_arrayILj256E21rocsparse_complex_numIfEiEEvT1_PT0_
    .private_segment_fixed_size: 0
    .sgpr_count:     7
    .sgpr_spill_count: 0
    .symbol:         _ZN9rocsparseL25kernel_set_identity_arrayILj256E21rocsparse_complex_numIfEiEEvT1_PT0_.kd
    .uniform_work_group_size: 1
    .uses_dynamic_stack: false
    .vgpr_count:     4
    .vgpr_spill_count: 0
    .wavefront_size: 32
  - .args:
      - .offset:         0
        .size:           4
        .value_kind:     by_value
      - .address_space:  global
        .offset:         8
        .size:           8
        .value_kind:     global_buffer
      - .address_space:  global
        .offset:         16
        .size:           8
        .value_kind:     global_buffer
      - .address_space:  global
        .offset:         24
        .size:           8
        .value_kind:     global_buffer
      - .offset:         32
        .size:           4
        .value_kind:     hidden_block_count_x
      - .offset:         36
        .size:           4
        .value_kind:     hidden_block_count_y
      - .offset:         40
        .size:           4
        .value_kind:     hidden_block_count_z
      - .offset:         44
        .size:           2
        .value_kind:     hidden_group_size_x
      - .offset:         46
        .size:           2
        .value_kind:     hidden_group_size_y
      - .offset:         48
        .size:           2
        .value_kind:     hidden_group_size_z
      - .offset:         50
        .size:           2
        .value_kind:     hidden_remainder_x
      - .offset:         52
        .size:           2
        .value_kind:     hidden_remainder_y
      - .offset:         54
        .size:           2
        .value_kind:     hidden_remainder_z
      - .offset:         72
        .size:           8
        .value_kind:     hidden_global_offset_x
      - .offset:         80
        .size:           8
        .value_kind:     hidden_global_offset_y
      - .offset:         88
        .size:           8
        .value_kind:     hidden_global_offset_z
      - .offset:         96
        .size:           2
        .value_kind:     hidden_grid_dims
    .group_segment_fixed_size: 0
    .kernarg_segment_align: 8
    .kernarg_segment_size: 288
    .language:       OpenCL C
    .language_version:
      - 2
      - 0
    .max_flat_workgroup_size: 256
    .name:           _ZN9rocsparseL25kernel_get_permuted_arrayILj256E21rocsparse_complex_numIfEiEEvT1_PKT0_PS4_PKS3_
    .private_segment_fixed_size: 0
    .sgpr_count:     8
    .sgpr_spill_count: 0
    .symbol:         _ZN9rocsparseL25kernel_get_permuted_arrayILj256E21rocsparse_complex_numIfEiEEvT1_PKT0_PS4_PKS3_.kd
    .uniform_work_group_size: 1
    .uses_dynamic_stack: false
    .vgpr_count:     4
    .vgpr_spill_count: 0
    .wavefront_size: 32
  - .args:
      - .offset:         0
        .size:           4
        .value_kind:     by_value
      - .address_space:  global
        .offset:         8
        .size:           8
        .value_kind:     global_buffer
      - .address_space:  global
        .offset:         16
        .size:           8
        .value_kind:     global_buffer
      - .address_space:  global
        .offset:         24
        .size:           8
        .value_kind:     global_buffer
      - .offset:         32
        .size:           4
        .value_kind:     hidden_block_count_x
      - .offset:         36
        .size:           4
        .value_kind:     hidden_block_count_y
      - .offset:         40
        .size:           4
        .value_kind:     hidden_block_count_z
      - .offset:         44
        .size:           2
        .value_kind:     hidden_group_size_x
      - .offset:         46
        .size:           2
        .value_kind:     hidden_group_size_y
      - .offset:         48
        .size:           2
        .value_kind:     hidden_group_size_z
      - .offset:         50
        .size:           2
        .value_kind:     hidden_remainder_x
      - .offset:         52
        .size:           2
        .value_kind:     hidden_remainder_y
      - .offset:         54
        .size:           2
        .value_kind:     hidden_remainder_z
      - .offset:         72
        .size:           8
        .value_kind:     hidden_global_offset_x
      - .offset:         80
        .size:           8
        .value_kind:     hidden_global_offset_y
      - .offset:         88
        .size:           8
        .value_kind:     hidden_global_offset_z
      - .offset:         96
        .size:           2
        .value_kind:     hidden_grid_dims
    .group_segment_fixed_size: 0
    .kernarg_segment_align: 8
    .kernarg_segment_size: 288
    .language:       OpenCL C
    .language_version:
      - 2
      - 0
    .max_flat_workgroup_size: 256
    .name:           _ZN9rocsparseL25kernel_set_permuted_arrayILj256E21rocsparse_complex_numIfEiEEvT1_PT0_PKS4_PKS3_
    .private_segment_fixed_size: 0
    .sgpr_count:     8
    .sgpr_spill_count: 0
    .symbol:         _ZN9rocsparseL25kernel_set_permuted_arrayILj256E21rocsparse_complex_numIfEiEEvT1_PT0_PKS4_PKS3_.kd
    .uniform_work_group_size: 1
    .uses_dynamic_stack: false
    .vgpr_count:     4
    .vgpr_spill_count: 0
    .wavefront_size: 32
  - .args:
      - .offset:         0
        .size:           4
        .value_kind:     by_value
      - .address_space:  global
        .offset:         8
        .size:           8
        .value_kind:     global_buffer
      - .offset:         16
        .size:           4
        .value_kind:     hidden_block_count_x
      - .offset:         20
        .size:           4
        .value_kind:     hidden_block_count_y
      - .offset:         24
        .size:           4
        .value_kind:     hidden_block_count_z
      - .offset:         28
        .size:           2
        .value_kind:     hidden_group_size_x
      - .offset:         30
        .size:           2
        .value_kind:     hidden_group_size_y
      - .offset:         32
        .size:           2
        .value_kind:     hidden_group_size_z
      - .offset:         34
        .size:           2
        .value_kind:     hidden_remainder_x
      - .offset:         36
        .size:           2
        .value_kind:     hidden_remainder_y
      - .offset:         38
        .size:           2
        .value_kind:     hidden_remainder_z
      - .offset:         56
        .size:           8
        .value_kind:     hidden_global_offset_x
      - .offset:         64
        .size:           8
        .value_kind:     hidden_global_offset_y
      - .offset:         72
        .size:           8
        .value_kind:     hidden_global_offset_z
      - .offset:         80
        .size:           2
        .value_kind:     hidden_grid_dims
    .group_segment_fixed_size: 0
    .kernarg_segment_align: 8
    .kernarg_segment_size: 272
    .language:       OpenCL C
    .language_version:
      - 2
      - 0
    .max_flat_workgroup_size: 256
    .name:           _ZN9rocsparseL25kernel_set_identity_arrayILj256E21rocsparse_complex_numIdEiEEvT1_PT0_
    .private_segment_fixed_size: 0
    .sgpr_count:     7
    .sgpr_spill_count: 0
    .symbol:         _ZN9rocsparseL25kernel_set_identity_arrayILj256E21rocsparse_complex_numIdEiEEvT1_PT0_.kd
    .uniform_work_group_size: 1
    .uses_dynamic_stack: false
    .vgpr_count:     6
    .vgpr_spill_count: 0
    .wavefront_size: 32
  - .args:
      - .offset:         0
        .size:           4
        .value_kind:     by_value
      - .address_space:  global
        .offset:         8
        .size:           8
        .value_kind:     global_buffer
      - .address_space:  global
        .offset:         16
        .size:           8
        .value_kind:     global_buffer
      - .address_space:  global
        .offset:         24
        .size:           8
        .value_kind:     global_buffer
      - .offset:         32
        .size:           4
        .value_kind:     hidden_block_count_x
      - .offset:         36
        .size:           4
        .value_kind:     hidden_block_count_y
      - .offset:         40
        .size:           4
        .value_kind:     hidden_block_count_z
      - .offset:         44
        .size:           2
        .value_kind:     hidden_group_size_x
      - .offset:         46
        .size:           2
        .value_kind:     hidden_group_size_y
      - .offset:         48
        .size:           2
        .value_kind:     hidden_group_size_z
      - .offset:         50
        .size:           2
        .value_kind:     hidden_remainder_x
      - .offset:         52
        .size:           2
        .value_kind:     hidden_remainder_y
      - .offset:         54
        .size:           2
        .value_kind:     hidden_remainder_z
      - .offset:         72
        .size:           8
        .value_kind:     hidden_global_offset_x
      - .offset:         80
        .size:           8
        .value_kind:     hidden_global_offset_y
      - .offset:         88
        .size:           8
        .value_kind:     hidden_global_offset_z
      - .offset:         96
        .size:           2
        .value_kind:     hidden_grid_dims
    .group_segment_fixed_size: 0
    .kernarg_segment_align: 8
    .kernarg_segment_size: 288
    .language:       OpenCL C
    .language_version:
      - 2
      - 0
    .max_flat_workgroup_size: 256
    .name:           _ZN9rocsparseL25kernel_get_permuted_arrayILj256E21rocsparse_complex_numIdEiEEvT1_PKT0_PS4_PKS3_
    .private_segment_fixed_size: 0
    .sgpr_count:     8
    .sgpr_spill_count: 0
    .symbol:         _ZN9rocsparseL25kernel_get_permuted_arrayILj256E21rocsparse_complex_numIdEiEEvT1_PKT0_PS4_PKS3_.kd
    .uniform_work_group_size: 1
    .uses_dynamic_stack: false
    .vgpr_count:     6
    .vgpr_spill_count: 0
    .wavefront_size: 32
  - .args:
      - .offset:         0
        .size:           4
        .value_kind:     by_value
      - .address_space:  global
        .offset:         8
        .size:           8
        .value_kind:     global_buffer
      - .address_space:  global
        .offset:         16
        .size:           8
        .value_kind:     global_buffer
      - .address_space:  global
        .offset:         24
        .size:           8
        .value_kind:     global_buffer
      - .offset:         32
        .size:           4
        .value_kind:     hidden_block_count_x
      - .offset:         36
        .size:           4
        .value_kind:     hidden_block_count_y
      - .offset:         40
        .size:           4
        .value_kind:     hidden_block_count_z
      - .offset:         44
        .size:           2
        .value_kind:     hidden_group_size_x
      - .offset:         46
        .size:           2
        .value_kind:     hidden_group_size_y
      - .offset:         48
        .size:           2
        .value_kind:     hidden_group_size_z
      - .offset:         50
        .size:           2
        .value_kind:     hidden_remainder_x
      - .offset:         52
        .size:           2
        .value_kind:     hidden_remainder_y
      - .offset:         54
        .size:           2
        .value_kind:     hidden_remainder_z
      - .offset:         72
        .size:           8
        .value_kind:     hidden_global_offset_x
      - .offset:         80
        .size:           8
        .value_kind:     hidden_global_offset_y
      - .offset:         88
        .size:           8
        .value_kind:     hidden_global_offset_z
      - .offset:         96
        .size:           2
        .value_kind:     hidden_grid_dims
    .group_segment_fixed_size: 0
    .kernarg_segment_align: 8
    .kernarg_segment_size: 288
    .language:       OpenCL C
    .language_version:
      - 2
      - 0
    .max_flat_workgroup_size: 256
    .name:           _ZN9rocsparseL25kernel_set_permuted_arrayILj256E21rocsparse_complex_numIdEiEEvT1_PT0_PKS4_PKS3_
    .private_segment_fixed_size: 0
    .sgpr_count:     8
    .sgpr_spill_count: 0
    .symbol:         _ZN9rocsparseL25kernel_set_permuted_arrayILj256E21rocsparse_complex_numIdEiEEvT1_PT0_PKS4_PKS3_.kd
    .uniform_work_group_size: 1
    .uses_dynamic_stack: false
    .vgpr_count:     6
    .vgpr_spill_count: 0
    .wavefront_size: 32
  - .args:
      - .offset:         0
        .size:           4
        .value_kind:     by_value
      - .address_space:  global
        .offset:         8
        .size:           8
        .value_kind:     global_buffer
      - .offset:         16
        .size:           4
        .value_kind:     hidden_block_count_x
      - .offset:         20
        .size:           4
        .value_kind:     hidden_block_count_y
      - .offset:         24
        .size:           4
        .value_kind:     hidden_block_count_z
      - .offset:         28
        .size:           2
        .value_kind:     hidden_group_size_x
      - .offset:         30
        .size:           2
        .value_kind:     hidden_group_size_y
      - .offset:         32
        .size:           2
        .value_kind:     hidden_group_size_z
      - .offset:         34
        .size:           2
        .value_kind:     hidden_remainder_x
      - .offset:         36
        .size:           2
        .value_kind:     hidden_remainder_y
      - .offset:         38
        .size:           2
        .value_kind:     hidden_remainder_z
      - .offset:         56
        .size:           8
        .value_kind:     hidden_global_offset_x
      - .offset:         64
        .size:           8
        .value_kind:     hidden_global_offset_y
      - .offset:         72
        .size:           8
        .value_kind:     hidden_global_offset_z
      - .offset:         80
        .size:           2
        .value_kind:     hidden_grid_dims
    .group_segment_fixed_size: 0
    .kernarg_segment_align: 8
    .kernarg_segment_size: 272
    .language:       OpenCL C
    .language_version:
      - 2
      - 0
    .max_flat_workgroup_size: 512
    .name:           _ZN9rocsparseL25kernel_set_identity_arrayILj512EfiEEvT1_PT0_
    .private_segment_fixed_size: 0
    .sgpr_count:     7
    .sgpr_spill_count: 0
    .symbol:         _ZN9rocsparseL25kernel_set_identity_arrayILj512EfiEEvT1_PT0_.kd
    .uniform_work_group_size: 1
    .uses_dynamic_stack: false
    .vgpr_count:     2
    .vgpr_spill_count: 0
    .wavefront_size: 32
  - .args:
      - .offset:         0
        .size:           4
        .value_kind:     by_value
      - .address_space:  global
        .offset:         8
        .size:           8
        .value_kind:     global_buffer
      - .address_space:  global
        .offset:         16
        .size:           8
        .value_kind:     global_buffer
      - .address_space:  global
        .offset:         24
        .size:           8
        .value_kind:     global_buffer
      - .offset:         32
        .size:           4
        .value_kind:     hidden_block_count_x
      - .offset:         36
        .size:           4
        .value_kind:     hidden_block_count_y
      - .offset:         40
        .size:           4
        .value_kind:     hidden_block_count_z
      - .offset:         44
        .size:           2
        .value_kind:     hidden_group_size_x
      - .offset:         46
        .size:           2
        .value_kind:     hidden_group_size_y
      - .offset:         48
        .size:           2
        .value_kind:     hidden_group_size_z
      - .offset:         50
        .size:           2
        .value_kind:     hidden_remainder_x
      - .offset:         52
        .size:           2
        .value_kind:     hidden_remainder_y
      - .offset:         54
        .size:           2
        .value_kind:     hidden_remainder_z
      - .offset:         72
        .size:           8
        .value_kind:     hidden_global_offset_x
      - .offset:         80
        .size:           8
        .value_kind:     hidden_global_offset_y
      - .offset:         88
        .size:           8
        .value_kind:     hidden_global_offset_z
      - .offset:         96
        .size:           2
        .value_kind:     hidden_grid_dims
    .group_segment_fixed_size: 0
    .kernarg_segment_align: 8
    .kernarg_segment_size: 288
    .language:       OpenCL C
    .language_version:
      - 2
      - 0
    .max_flat_workgroup_size: 512
    .name:           _ZN9rocsparseL25kernel_get_permuted_arrayILj512EfiEEvT1_PKT0_PS2_PKS1_
    .private_segment_fixed_size: 0
    .sgpr_count:     8
    .sgpr_spill_count: 0
    .symbol:         _ZN9rocsparseL25kernel_get_permuted_arrayILj512EfiEEvT1_PKT0_PS2_PKS1_.kd
    .uniform_work_group_size: 1
    .uses_dynamic_stack: false
    .vgpr_count:     2
    .vgpr_spill_count: 0
    .wavefront_size: 32
  - .args:
      - .offset:         0
        .size:           4
        .value_kind:     by_value
      - .address_space:  global
        .offset:         8
        .size:           8
        .value_kind:     global_buffer
      - .address_space:  global
        .offset:         16
        .size:           8
        .value_kind:     global_buffer
      - .address_space:  global
        .offset:         24
        .size:           8
        .value_kind:     global_buffer
      - .offset:         32
        .size:           4
        .value_kind:     hidden_block_count_x
      - .offset:         36
        .size:           4
        .value_kind:     hidden_block_count_y
      - .offset:         40
        .size:           4
        .value_kind:     hidden_block_count_z
      - .offset:         44
        .size:           2
        .value_kind:     hidden_group_size_x
      - .offset:         46
        .size:           2
        .value_kind:     hidden_group_size_y
      - .offset:         48
        .size:           2
        .value_kind:     hidden_group_size_z
      - .offset:         50
        .size:           2
        .value_kind:     hidden_remainder_x
      - .offset:         52
        .size:           2
        .value_kind:     hidden_remainder_y
      - .offset:         54
        .size:           2
        .value_kind:     hidden_remainder_z
      - .offset:         72
        .size:           8
        .value_kind:     hidden_global_offset_x
      - .offset:         80
        .size:           8
        .value_kind:     hidden_global_offset_y
      - .offset:         88
        .size:           8
        .value_kind:     hidden_global_offset_z
      - .offset:         96
        .size:           2
        .value_kind:     hidden_grid_dims
    .group_segment_fixed_size: 0
    .kernarg_segment_align: 8
    .kernarg_segment_size: 288
    .language:       OpenCL C
    .language_version:
      - 2
      - 0
    .max_flat_workgroup_size: 512
    .name:           _ZN9rocsparseL25kernel_set_permuted_arrayILj512EfiEEvT1_PT0_PKS2_PKS1_
    .private_segment_fixed_size: 0
    .sgpr_count:     8
    .sgpr_spill_count: 0
    .symbol:         _ZN9rocsparseL25kernel_set_permuted_arrayILj512EfiEEvT1_PT0_PKS2_PKS1_.kd
    .uniform_work_group_size: 1
    .uses_dynamic_stack: false
    .vgpr_count:     3
    .vgpr_spill_count: 0
    .wavefront_size: 32
  - .args:
      - .offset:         0
        .size:           4
        .value_kind:     by_value
      - .address_space:  global
        .offset:         8
        .size:           8
        .value_kind:     global_buffer
      - .offset:         16
        .size:           4
        .value_kind:     hidden_block_count_x
      - .offset:         20
        .size:           4
        .value_kind:     hidden_block_count_y
      - .offset:         24
        .size:           4
        .value_kind:     hidden_block_count_z
      - .offset:         28
        .size:           2
        .value_kind:     hidden_group_size_x
      - .offset:         30
        .size:           2
        .value_kind:     hidden_group_size_y
      - .offset:         32
        .size:           2
        .value_kind:     hidden_group_size_z
      - .offset:         34
        .size:           2
        .value_kind:     hidden_remainder_x
      - .offset:         36
        .size:           2
        .value_kind:     hidden_remainder_y
      - .offset:         38
        .size:           2
        .value_kind:     hidden_remainder_z
      - .offset:         56
        .size:           8
        .value_kind:     hidden_global_offset_x
      - .offset:         64
        .size:           8
        .value_kind:     hidden_global_offset_y
      - .offset:         72
        .size:           8
        .value_kind:     hidden_global_offset_z
      - .offset:         80
        .size:           2
        .value_kind:     hidden_grid_dims
    .group_segment_fixed_size: 0
    .kernarg_segment_align: 8
    .kernarg_segment_size: 272
    .language:       OpenCL C
    .language_version:
      - 2
      - 0
    .max_flat_workgroup_size: 512
    .name:           _ZN9rocsparseL25kernel_set_identity_arrayILj512EdiEEvT1_PT0_
    .private_segment_fixed_size: 0
    .sgpr_count:     7
    .sgpr_spill_count: 0
    .symbol:         _ZN9rocsparseL25kernel_set_identity_arrayILj512EdiEEvT1_PT0_.kd
    .uniform_work_group_size: 1
    .uses_dynamic_stack: false
    .vgpr_count:     4
    .vgpr_spill_count: 0
    .wavefront_size: 32
  - .args:
      - .offset:         0
        .size:           4
        .value_kind:     by_value
      - .address_space:  global
        .offset:         8
        .size:           8
        .value_kind:     global_buffer
      - .address_space:  global
        .offset:         16
        .size:           8
        .value_kind:     global_buffer
      - .address_space:  global
        .offset:         24
        .size:           8
        .value_kind:     global_buffer
      - .offset:         32
        .size:           4
        .value_kind:     hidden_block_count_x
      - .offset:         36
        .size:           4
        .value_kind:     hidden_block_count_y
      - .offset:         40
        .size:           4
        .value_kind:     hidden_block_count_z
      - .offset:         44
        .size:           2
        .value_kind:     hidden_group_size_x
      - .offset:         46
        .size:           2
        .value_kind:     hidden_group_size_y
      - .offset:         48
        .size:           2
        .value_kind:     hidden_group_size_z
      - .offset:         50
        .size:           2
        .value_kind:     hidden_remainder_x
      - .offset:         52
        .size:           2
        .value_kind:     hidden_remainder_y
      - .offset:         54
        .size:           2
        .value_kind:     hidden_remainder_z
      - .offset:         72
        .size:           8
        .value_kind:     hidden_global_offset_x
      - .offset:         80
        .size:           8
        .value_kind:     hidden_global_offset_y
      - .offset:         88
        .size:           8
        .value_kind:     hidden_global_offset_z
      - .offset:         96
        .size:           2
        .value_kind:     hidden_grid_dims
    .group_segment_fixed_size: 0
    .kernarg_segment_align: 8
    .kernarg_segment_size: 288
    .language:       OpenCL C
    .language_version:
      - 2
      - 0
    .max_flat_workgroup_size: 512
    .name:           _ZN9rocsparseL25kernel_get_permuted_arrayILj512EdiEEvT1_PKT0_PS2_PKS1_
    .private_segment_fixed_size: 0
    .sgpr_count:     8
    .sgpr_spill_count: 0
    .symbol:         _ZN9rocsparseL25kernel_get_permuted_arrayILj512EdiEEvT1_PKT0_PS2_PKS1_.kd
    .uniform_work_group_size: 1
    .uses_dynamic_stack: false
    .vgpr_count:     4
    .vgpr_spill_count: 0
    .wavefront_size: 32
  - .args:
      - .offset:         0
        .size:           4
        .value_kind:     by_value
      - .address_space:  global
        .offset:         8
        .size:           8
        .value_kind:     global_buffer
      - .address_space:  global
        .offset:         16
        .size:           8
        .value_kind:     global_buffer
      - .address_space:  global
        .offset:         24
        .size:           8
        .value_kind:     global_buffer
      - .offset:         32
        .size:           4
        .value_kind:     hidden_block_count_x
      - .offset:         36
        .size:           4
        .value_kind:     hidden_block_count_y
      - .offset:         40
        .size:           4
        .value_kind:     hidden_block_count_z
      - .offset:         44
        .size:           2
        .value_kind:     hidden_group_size_x
      - .offset:         46
        .size:           2
        .value_kind:     hidden_group_size_y
      - .offset:         48
        .size:           2
        .value_kind:     hidden_group_size_z
      - .offset:         50
        .size:           2
        .value_kind:     hidden_remainder_x
      - .offset:         52
        .size:           2
        .value_kind:     hidden_remainder_y
      - .offset:         54
        .size:           2
        .value_kind:     hidden_remainder_z
      - .offset:         72
        .size:           8
        .value_kind:     hidden_global_offset_x
      - .offset:         80
        .size:           8
        .value_kind:     hidden_global_offset_y
      - .offset:         88
        .size:           8
        .value_kind:     hidden_global_offset_z
      - .offset:         96
        .size:           2
        .value_kind:     hidden_grid_dims
    .group_segment_fixed_size: 0
    .kernarg_segment_align: 8
    .kernarg_segment_size: 288
    .language:       OpenCL C
    .language_version:
      - 2
      - 0
    .max_flat_workgroup_size: 512
    .name:           _ZN9rocsparseL25kernel_set_permuted_arrayILj512EdiEEvT1_PT0_PKS2_PKS1_
    .private_segment_fixed_size: 0
    .sgpr_count:     8
    .sgpr_spill_count: 0
    .symbol:         _ZN9rocsparseL25kernel_set_permuted_arrayILj512EdiEEvT1_PT0_PKS2_PKS1_.kd
    .uniform_work_group_size: 1
    .uses_dynamic_stack: false
    .vgpr_count:     4
    .vgpr_spill_count: 0
    .wavefront_size: 32
  - .args:
      - .offset:         0
        .size:           4
        .value_kind:     by_value
      - .address_space:  global
        .offset:         8
        .size:           8
        .value_kind:     global_buffer
      - .offset:         16
        .size:           4
        .value_kind:     hidden_block_count_x
      - .offset:         20
        .size:           4
        .value_kind:     hidden_block_count_y
      - .offset:         24
        .size:           4
        .value_kind:     hidden_block_count_z
      - .offset:         28
        .size:           2
        .value_kind:     hidden_group_size_x
      - .offset:         30
        .size:           2
        .value_kind:     hidden_group_size_y
      - .offset:         32
        .size:           2
        .value_kind:     hidden_group_size_z
      - .offset:         34
        .size:           2
        .value_kind:     hidden_remainder_x
      - .offset:         36
        .size:           2
        .value_kind:     hidden_remainder_y
      - .offset:         38
        .size:           2
        .value_kind:     hidden_remainder_z
      - .offset:         56
        .size:           8
        .value_kind:     hidden_global_offset_x
      - .offset:         64
        .size:           8
        .value_kind:     hidden_global_offset_y
      - .offset:         72
        .size:           8
        .value_kind:     hidden_global_offset_z
      - .offset:         80
        .size:           2
        .value_kind:     hidden_grid_dims
    .group_segment_fixed_size: 0
    .kernarg_segment_align: 8
    .kernarg_segment_size: 272
    .language:       OpenCL C
    .language_version:
      - 2
      - 0
    .max_flat_workgroup_size: 512
    .name:           _ZN9rocsparseL25kernel_set_identity_arrayILj512E21rocsparse_complex_numIfEiEEvT1_PT0_
    .private_segment_fixed_size: 0
    .sgpr_count:     7
    .sgpr_spill_count: 0
    .symbol:         _ZN9rocsparseL25kernel_set_identity_arrayILj512E21rocsparse_complex_numIfEiEEvT1_PT0_.kd
    .uniform_work_group_size: 1
    .uses_dynamic_stack: false
    .vgpr_count:     4
    .vgpr_spill_count: 0
    .wavefront_size: 32
  - .args:
      - .offset:         0
        .size:           4
        .value_kind:     by_value
      - .address_space:  global
        .offset:         8
        .size:           8
        .value_kind:     global_buffer
      - .address_space:  global
        .offset:         16
        .size:           8
        .value_kind:     global_buffer
      - .address_space:  global
        .offset:         24
        .size:           8
        .value_kind:     global_buffer
      - .offset:         32
        .size:           4
        .value_kind:     hidden_block_count_x
      - .offset:         36
        .size:           4
        .value_kind:     hidden_block_count_y
      - .offset:         40
        .size:           4
        .value_kind:     hidden_block_count_z
      - .offset:         44
        .size:           2
        .value_kind:     hidden_group_size_x
      - .offset:         46
        .size:           2
        .value_kind:     hidden_group_size_y
      - .offset:         48
        .size:           2
        .value_kind:     hidden_group_size_z
      - .offset:         50
        .size:           2
        .value_kind:     hidden_remainder_x
      - .offset:         52
        .size:           2
        .value_kind:     hidden_remainder_y
      - .offset:         54
        .size:           2
        .value_kind:     hidden_remainder_z
      - .offset:         72
        .size:           8
        .value_kind:     hidden_global_offset_x
      - .offset:         80
        .size:           8
        .value_kind:     hidden_global_offset_y
      - .offset:         88
        .size:           8
        .value_kind:     hidden_global_offset_z
      - .offset:         96
        .size:           2
        .value_kind:     hidden_grid_dims
    .group_segment_fixed_size: 0
    .kernarg_segment_align: 8
    .kernarg_segment_size: 288
    .language:       OpenCL C
    .language_version:
      - 2
      - 0
    .max_flat_workgroup_size: 512
    .name:           _ZN9rocsparseL25kernel_get_permuted_arrayILj512E21rocsparse_complex_numIfEiEEvT1_PKT0_PS4_PKS3_
    .private_segment_fixed_size: 0
    .sgpr_count:     8
    .sgpr_spill_count: 0
    .symbol:         _ZN9rocsparseL25kernel_get_permuted_arrayILj512E21rocsparse_complex_numIfEiEEvT1_PKT0_PS4_PKS3_.kd
    .uniform_work_group_size: 1
    .uses_dynamic_stack: false
    .vgpr_count:     4
    .vgpr_spill_count: 0
    .wavefront_size: 32
  - .args:
      - .offset:         0
        .size:           4
        .value_kind:     by_value
      - .address_space:  global
        .offset:         8
        .size:           8
        .value_kind:     global_buffer
      - .address_space:  global
        .offset:         16
        .size:           8
        .value_kind:     global_buffer
      - .address_space:  global
        .offset:         24
        .size:           8
        .value_kind:     global_buffer
      - .offset:         32
        .size:           4
        .value_kind:     hidden_block_count_x
      - .offset:         36
        .size:           4
        .value_kind:     hidden_block_count_y
      - .offset:         40
        .size:           4
        .value_kind:     hidden_block_count_z
      - .offset:         44
        .size:           2
        .value_kind:     hidden_group_size_x
      - .offset:         46
        .size:           2
        .value_kind:     hidden_group_size_y
      - .offset:         48
        .size:           2
        .value_kind:     hidden_group_size_z
      - .offset:         50
        .size:           2
        .value_kind:     hidden_remainder_x
      - .offset:         52
        .size:           2
        .value_kind:     hidden_remainder_y
      - .offset:         54
        .size:           2
        .value_kind:     hidden_remainder_z
      - .offset:         72
        .size:           8
        .value_kind:     hidden_global_offset_x
      - .offset:         80
        .size:           8
        .value_kind:     hidden_global_offset_y
      - .offset:         88
        .size:           8
        .value_kind:     hidden_global_offset_z
      - .offset:         96
        .size:           2
        .value_kind:     hidden_grid_dims
    .group_segment_fixed_size: 0
    .kernarg_segment_align: 8
    .kernarg_segment_size: 288
    .language:       OpenCL C
    .language_version:
      - 2
      - 0
    .max_flat_workgroup_size: 512
    .name:           _ZN9rocsparseL25kernel_set_permuted_arrayILj512E21rocsparse_complex_numIfEiEEvT1_PT0_PKS4_PKS3_
    .private_segment_fixed_size: 0
    .sgpr_count:     8
    .sgpr_spill_count: 0
    .symbol:         _ZN9rocsparseL25kernel_set_permuted_arrayILj512E21rocsparse_complex_numIfEiEEvT1_PT0_PKS4_PKS3_.kd
    .uniform_work_group_size: 1
    .uses_dynamic_stack: false
    .vgpr_count:     4
    .vgpr_spill_count: 0
    .wavefront_size: 32
  - .args:
      - .offset:         0
        .size:           4
        .value_kind:     by_value
      - .address_space:  global
        .offset:         8
        .size:           8
        .value_kind:     global_buffer
      - .offset:         16
        .size:           4
        .value_kind:     hidden_block_count_x
      - .offset:         20
        .size:           4
        .value_kind:     hidden_block_count_y
      - .offset:         24
        .size:           4
        .value_kind:     hidden_block_count_z
      - .offset:         28
        .size:           2
        .value_kind:     hidden_group_size_x
      - .offset:         30
        .size:           2
        .value_kind:     hidden_group_size_y
      - .offset:         32
        .size:           2
        .value_kind:     hidden_group_size_z
      - .offset:         34
        .size:           2
        .value_kind:     hidden_remainder_x
      - .offset:         36
        .size:           2
        .value_kind:     hidden_remainder_y
      - .offset:         38
        .size:           2
        .value_kind:     hidden_remainder_z
      - .offset:         56
        .size:           8
        .value_kind:     hidden_global_offset_x
      - .offset:         64
        .size:           8
        .value_kind:     hidden_global_offset_y
      - .offset:         72
        .size:           8
        .value_kind:     hidden_global_offset_z
      - .offset:         80
        .size:           2
        .value_kind:     hidden_grid_dims
    .group_segment_fixed_size: 0
    .kernarg_segment_align: 8
    .kernarg_segment_size: 272
    .language:       OpenCL C
    .language_version:
      - 2
      - 0
    .max_flat_workgroup_size: 512
    .name:           _ZN9rocsparseL25kernel_set_identity_arrayILj512E21rocsparse_complex_numIdEiEEvT1_PT0_
    .private_segment_fixed_size: 0
    .sgpr_count:     7
    .sgpr_spill_count: 0
    .symbol:         _ZN9rocsparseL25kernel_set_identity_arrayILj512E21rocsparse_complex_numIdEiEEvT1_PT0_.kd
    .uniform_work_group_size: 1
    .uses_dynamic_stack: false
    .vgpr_count:     6
    .vgpr_spill_count: 0
    .wavefront_size: 32
  - .args:
      - .offset:         0
        .size:           4
        .value_kind:     by_value
      - .address_space:  global
        .offset:         8
        .size:           8
        .value_kind:     global_buffer
      - .address_space:  global
        .offset:         16
        .size:           8
        .value_kind:     global_buffer
      - .address_space:  global
        .offset:         24
        .size:           8
        .value_kind:     global_buffer
      - .offset:         32
        .size:           4
        .value_kind:     hidden_block_count_x
      - .offset:         36
        .size:           4
        .value_kind:     hidden_block_count_y
      - .offset:         40
        .size:           4
        .value_kind:     hidden_block_count_z
      - .offset:         44
        .size:           2
        .value_kind:     hidden_group_size_x
      - .offset:         46
        .size:           2
        .value_kind:     hidden_group_size_y
      - .offset:         48
        .size:           2
        .value_kind:     hidden_group_size_z
      - .offset:         50
        .size:           2
        .value_kind:     hidden_remainder_x
      - .offset:         52
        .size:           2
        .value_kind:     hidden_remainder_y
      - .offset:         54
        .size:           2
        .value_kind:     hidden_remainder_z
      - .offset:         72
        .size:           8
        .value_kind:     hidden_global_offset_x
      - .offset:         80
        .size:           8
        .value_kind:     hidden_global_offset_y
      - .offset:         88
        .size:           8
        .value_kind:     hidden_global_offset_z
      - .offset:         96
        .size:           2
        .value_kind:     hidden_grid_dims
    .group_segment_fixed_size: 0
    .kernarg_segment_align: 8
    .kernarg_segment_size: 288
    .language:       OpenCL C
    .language_version:
      - 2
      - 0
    .max_flat_workgroup_size: 512
    .name:           _ZN9rocsparseL25kernel_get_permuted_arrayILj512E21rocsparse_complex_numIdEiEEvT1_PKT0_PS4_PKS3_
    .private_segment_fixed_size: 0
    .sgpr_count:     8
    .sgpr_spill_count: 0
    .symbol:         _ZN9rocsparseL25kernel_get_permuted_arrayILj512E21rocsparse_complex_numIdEiEEvT1_PKT0_PS4_PKS3_.kd
    .uniform_work_group_size: 1
    .uses_dynamic_stack: false
    .vgpr_count:     6
    .vgpr_spill_count: 0
    .wavefront_size: 32
  - .args:
      - .offset:         0
        .size:           4
        .value_kind:     by_value
      - .address_space:  global
        .offset:         8
        .size:           8
        .value_kind:     global_buffer
      - .address_space:  global
        .offset:         16
        .size:           8
        .value_kind:     global_buffer
      - .address_space:  global
        .offset:         24
        .size:           8
        .value_kind:     global_buffer
      - .offset:         32
        .size:           4
        .value_kind:     hidden_block_count_x
      - .offset:         36
        .size:           4
        .value_kind:     hidden_block_count_y
      - .offset:         40
        .size:           4
        .value_kind:     hidden_block_count_z
      - .offset:         44
        .size:           2
        .value_kind:     hidden_group_size_x
      - .offset:         46
        .size:           2
        .value_kind:     hidden_group_size_y
      - .offset:         48
        .size:           2
        .value_kind:     hidden_group_size_z
      - .offset:         50
        .size:           2
        .value_kind:     hidden_remainder_x
      - .offset:         52
        .size:           2
        .value_kind:     hidden_remainder_y
      - .offset:         54
        .size:           2
        .value_kind:     hidden_remainder_z
      - .offset:         72
        .size:           8
        .value_kind:     hidden_global_offset_x
      - .offset:         80
        .size:           8
        .value_kind:     hidden_global_offset_y
      - .offset:         88
        .size:           8
        .value_kind:     hidden_global_offset_z
      - .offset:         96
        .size:           2
        .value_kind:     hidden_grid_dims
    .group_segment_fixed_size: 0
    .kernarg_segment_align: 8
    .kernarg_segment_size: 288
    .language:       OpenCL C
    .language_version:
      - 2
      - 0
    .max_flat_workgroup_size: 512
    .name:           _ZN9rocsparseL25kernel_set_permuted_arrayILj512E21rocsparse_complex_numIdEiEEvT1_PT0_PKS4_PKS3_
    .private_segment_fixed_size: 0
    .sgpr_count:     8
    .sgpr_spill_count: 0
    .symbol:         _ZN9rocsparseL25kernel_set_permuted_arrayILj512E21rocsparse_complex_numIdEiEEvT1_PT0_PKS4_PKS3_.kd
    .uniform_work_group_size: 1
    .uses_dynamic_stack: false
    .vgpr_count:     6
    .vgpr_spill_count: 0
    .wavefront_size: 32
  - .args:
      - .offset:         0
        .size:           8
        .value_kind:     by_value
      - .address_space:  global
        .offset:         8
        .size:           8
        .value_kind:     global_buffer
      - .offset:         16
        .size:           4
        .value_kind:     hidden_block_count_x
      - .offset:         20
        .size:           4
        .value_kind:     hidden_block_count_y
      - .offset:         24
        .size:           4
        .value_kind:     hidden_block_count_z
      - .offset:         28
        .size:           2
        .value_kind:     hidden_group_size_x
      - .offset:         30
        .size:           2
        .value_kind:     hidden_group_size_y
      - .offset:         32
        .size:           2
        .value_kind:     hidden_group_size_z
      - .offset:         34
        .size:           2
        .value_kind:     hidden_remainder_x
      - .offset:         36
        .size:           2
        .value_kind:     hidden_remainder_y
      - .offset:         38
        .size:           2
        .value_kind:     hidden_remainder_z
      - .offset:         56
        .size:           8
        .value_kind:     hidden_global_offset_x
      - .offset:         64
        .size:           8
        .value_kind:     hidden_global_offset_y
      - .offset:         72
        .size:           8
        .value_kind:     hidden_global_offset_z
      - .offset:         80
        .size:           2
        .value_kind:     hidden_grid_dims
    .group_segment_fixed_size: 0
    .kernarg_segment_align: 8
    .kernarg_segment_size: 272
    .language:       OpenCL C
    .language_version:
      - 2
      - 0
    .max_flat_workgroup_size: 1024
    .name:           _ZN9rocsparseL25kernel_set_identity_arrayILj1024EllEEvT1_PT0_
    .private_segment_fixed_size: 0
    .sgpr_count:     8
    .sgpr_spill_count: 0
    .symbol:         _ZN9rocsparseL25kernel_set_identity_arrayILj1024EllEEvT1_PT0_.kd
    .uniform_work_group_size: 1
    .uses_dynamic_stack: false
    .vgpr_count:     4
    .vgpr_spill_count: 0
    .wavefront_size: 32
  - .args:
      - .offset:         0
        .size:           8
        .value_kind:     by_value
      - .address_space:  global
        .offset:         8
        .size:           8
        .value_kind:     global_buffer
      - .address_space:  global
        .offset:         16
        .size:           8
        .value_kind:     global_buffer
      - .address_space:  global
        .offset:         24
        .size:           8
        .value_kind:     global_buffer
      - .offset:         32
        .size:           4
        .value_kind:     hidden_block_count_x
      - .offset:         36
        .size:           4
        .value_kind:     hidden_block_count_y
      - .offset:         40
        .size:           4
        .value_kind:     hidden_block_count_z
      - .offset:         44
        .size:           2
        .value_kind:     hidden_group_size_x
      - .offset:         46
        .size:           2
        .value_kind:     hidden_group_size_y
      - .offset:         48
        .size:           2
        .value_kind:     hidden_group_size_z
      - .offset:         50
        .size:           2
        .value_kind:     hidden_remainder_x
      - .offset:         52
        .size:           2
        .value_kind:     hidden_remainder_y
      - .offset:         54
        .size:           2
        .value_kind:     hidden_remainder_z
      - .offset:         72
        .size:           8
        .value_kind:     hidden_global_offset_x
      - .offset:         80
        .size:           8
        .value_kind:     hidden_global_offset_y
      - .offset:         88
        .size:           8
        .value_kind:     hidden_global_offset_z
      - .offset:         96
        .size:           2
        .value_kind:     hidden_grid_dims
    .group_segment_fixed_size: 0
    .kernarg_segment_align: 8
    .kernarg_segment_size: 288
    .language:       OpenCL C
    .language_version:
      - 2
      - 0
    .max_flat_workgroup_size: 1024
    .name:           _ZN9rocsparseL25kernel_get_permuted_arrayILj1024EllEEvT1_PKT0_PS2_PKS1_
    .private_segment_fixed_size: 0
    .sgpr_count:     13
    .sgpr_spill_count: 0
    .symbol:         _ZN9rocsparseL25kernel_get_permuted_arrayILj1024EllEEvT1_PKT0_PS2_PKS1_.kd
    .uniform_work_group_size: 1
    .uses_dynamic_stack: false
    .vgpr_count:     4
    .vgpr_spill_count: 0
    .wavefront_size: 32
  - .args:
      - .offset:         0
        .size:           8
        .value_kind:     by_value
      - .address_space:  global
        .offset:         8
        .size:           8
        .value_kind:     global_buffer
      - .address_space:  global
        .offset:         16
        .size:           8
        .value_kind:     global_buffer
      - .address_space:  global
        .offset:         24
        .size:           8
        .value_kind:     global_buffer
      - .offset:         32
        .size:           4
        .value_kind:     hidden_block_count_x
      - .offset:         36
        .size:           4
        .value_kind:     hidden_block_count_y
      - .offset:         40
        .size:           4
        .value_kind:     hidden_block_count_z
      - .offset:         44
        .size:           2
        .value_kind:     hidden_group_size_x
      - .offset:         46
        .size:           2
        .value_kind:     hidden_group_size_y
      - .offset:         48
        .size:           2
        .value_kind:     hidden_group_size_z
      - .offset:         50
        .size:           2
        .value_kind:     hidden_remainder_x
      - .offset:         52
        .size:           2
        .value_kind:     hidden_remainder_y
      - .offset:         54
        .size:           2
        .value_kind:     hidden_remainder_z
      - .offset:         72
        .size:           8
        .value_kind:     hidden_global_offset_x
      - .offset:         80
        .size:           8
        .value_kind:     hidden_global_offset_y
      - .offset:         88
        .size:           8
        .value_kind:     hidden_global_offset_z
      - .offset:         96
        .size:           2
        .value_kind:     hidden_grid_dims
    .group_segment_fixed_size: 0
    .kernarg_segment_align: 8
    .kernarg_segment_size: 288
    .language:       OpenCL C
    .language_version:
      - 2
      - 0
    .max_flat_workgroup_size: 1024
    .name:           _ZN9rocsparseL25kernel_set_permuted_arrayILj1024EllEEvT1_PT0_PKS2_PKS1_
    .private_segment_fixed_size: 0
    .sgpr_count:     13
    .sgpr_spill_count: 0
    .symbol:         _ZN9rocsparseL25kernel_set_permuted_arrayILj1024EllEEvT1_PT0_PKS2_PKS1_.kd
    .uniform_work_group_size: 1
    .uses_dynamic_stack: false
    .vgpr_count:     8
    .vgpr_spill_count: 0
    .wavefront_size: 32
  - .args:
      - .offset:         0
        .size:           8
        .value_kind:     by_value
      - .address_space:  global
        .offset:         8
        .size:           8
        .value_kind:     global_buffer
      - .offset:         16
        .size:           4
        .value_kind:     hidden_block_count_x
      - .offset:         20
        .size:           4
        .value_kind:     hidden_block_count_y
      - .offset:         24
        .size:           4
        .value_kind:     hidden_block_count_z
      - .offset:         28
        .size:           2
        .value_kind:     hidden_group_size_x
      - .offset:         30
        .size:           2
        .value_kind:     hidden_group_size_y
      - .offset:         32
        .size:           2
        .value_kind:     hidden_group_size_z
      - .offset:         34
        .size:           2
        .value_kind:     hidden_remainder_x
      - .offset:         36
        .size:           2
        .value_kind:     hidden_remainder_y
      - .offset:         38
        .size:           2
        .value_kind:     hidden_remainder_z
      - .offset:         56
        .size:           8
        .value_kind:     hidden_global_offset_x
      - .offset:         64
        .size:           8
        .value_kind:     hidden_global_offset_y
      - .offset:         72
        .size:           8
        .value_kind:     hidden_global_offset_z
      - .offset:         80
        .size:           2
        .value_kind:     hidden_grid_dims
    .group_segment_fixed_size: 0
    .kernarg_segment_align: 8
    .kernarg_segment_size: 272
    .language:       OpenCL C
    .language_version:
      - 2
      - 0
    .max_flat_workgroup_size: 1024
    .name:           _ZN9rocsparseL25kernel_set_identity_arrayILj1024EflEEvT1_PT0_
    .private_segment_fixed_size: 0
    .sgpr_count:     8
    .sgpr_spill_count: 0
    .symbol:         _ZN9rocsparseL25kernel_set_identity_arrayILj1024EflEEvT1_PT0_.kd
    .uniform_work_group_size: 1
    .uses_dynamic_stack: false
    .vgpr_count:     3
    .vgpr_spill_count: 0
    .wavefront_size: 32
  - .args:
      - .offset:         0
        .size:           8
        .value_kind:     by_value
      - .address_space:  global
        .offset:         8
        .size:           8
        .value_kind:     global_buffer
      - .address_space:  global
        .offset:         16
        .size:           8
        .value_kind:     global_buffer
      - .address_space:  global
        .offset:         24
        .size:           8
        .value_kind:     global_buffer
      - .offset:         32
        .size:           4
        .value_kind:     hidden_block_count_x
      - .offset:         36
        .size:           4
        .value_kind:     hidden_block_count_y
      - .offset:         40
        .size:           4
        .value_kind:     hidden_block_count_z
      - .offset:         44
        .size:           2
        .value_kind:     hidden_group_size_x
      - .offset:         46
        .size:           2
        .value_kind:     hidden_group_size_y
      - .offset:         48
        .size:           2
        .value_kind:     hidden_group_size_z
      - .offset:         50
        .size:           2
        .value_kind:     hidden_remainder_x
      - .offset:         52
        .size:           2
        .value_kind:     hidden_remainder_y
      - .offset:         54
        .size:           2
        .value_kind:     hidden_remainder_z
      - .offset:         72
        .size:           8
        .value_kind:     hidden_global_offset_x
      - .offset:         80
        .size:           8
        .value_kind:     hidden_global_offset_y
      - .offset:         88
        .size:           8
        .value_kind:     hidden_global_offset_z
      - .offset:         96
        .size:           2
        .value_kind:     hidden_grid_dims
    .group_segment_fixed_size: 0
    .kernarg_segment_align: 8
    .kernarg_segment_size: 288
    .language:       OpenCL C
    .language_version:
      - 2
      - 0
    .max_flat_workgroup_size: 1024
    .name:           _ZN9rocsparseL25kernel_get_permuted_arrayILj1024EflEEvT1_PKT0_PS2_PKS1_
    .private_segment_fixed_size: 0
    .sgpr_count:     13
    .sgpr_spill_count: 0
    .symbol:         _ZN9rocsparseL25kernel_get_permuted_arrayILj1024EflEEvT1_PKT0_PS2_PKS1_.kd
    .uniform_work_group_size: 1
    .uses_dynamic_stack: false
    .vgpr_count:     4
    .vgpr_spill_count: 0
    .wavefront_size: 32
  - .args:
      - .offset:         0
        .size:           8
        .value_kind:     by_value
      - .address_space:  global
        .offset:         8
        .size:           8
        .value_kind:     global_buffer
      - .address_space:  global
        .offset:         16
        .size:           8
        .value_kind:     global_buffer
      - .address_space:  global
        .offset:         24
        .size:           8
        .value_kind:     global_buffer
      - .offset:         32
        .size:           4
        .value_kind:     hidden_block_count_x
      - .offset:         36
        .size:           4
        .value_kind:     hidden_block_count_y
      - .offset:         40
        .size:           4
        .value_kind:     hidden_block_count_z
      - .offset:         44
        .size:           2
        .value_kind:     hidden_group_size_x
      - .offset:         46
        .size:           2
        .value_kind:     hidden_group_size_y
      - .offset:         48
        .size:           2
        .value_kind:     hidden_group_size_z
      - .offset:         50
        .size:           2
        .value_kind:     hidden_remainder_x
      - .offset:         52
        .size:           2
        .value_kind:     hidden_remainder_y
      - .offset:         54
        .size:           2
        .value_kind:     hidden_remainder_z
      - .offset:         72
        .size:           8
        .value_kind:     hidden_global_offset_x
      - .offset:         80
        .size:           8
        .value_kind:     hidden_global_offset_y
      - .offset:         88
        .size:           8
        .value_kind:     hidden_global_offset_z
      - .offset:         96
        .size:           2
        .value_kind:     hidden_grid_dims
    .group_segment_fixed_size: 0
    .kernarg_segment_align: 8
    .kernarg_segment_size: 288
    .language:       OpenCL C
    .language_version:
      - 2
      - 0
    .max_flat_workgroup_size: 1024
    .name:           _ZN9rocsparseL25kernel_set_permuted_arrayILj1024EflEEvT1_PT0_PKS2_PKS1_
    .private_segment_fixed_size: 0
    .sgpr_count:     13
    .sgpr_spill_count: 0
    .symbol:         _ZN9rocsparseL25kernel_set_permuted_arrayILj1024EflEEvT1_PT0_PKS2_PKS1_.kd
    .uniform_work_group_size: 1
    .uses_dynamic_stack: false
    .vgpr_count:     7
    .vgpr_spill_count: 0
    .wavefront_size: 32
  - .args:
      - .offset:         0
        .size:           8
        .value_kind:     by_value
      - .address_space:  global
        .offset:         8
        .size:           8
        .value_kind:     global_buffer
      - .offset:         16
        .size:           4
        .value_kind:     hidden_block_count_x
      - .offset:         20
        .size:           4
        .value_kind:     hidden_block_count_y
      - .offset:         24
        .size:           4
        .value_kind:     hidden_block_count_z
      - .offset:         28
        .size:           2
        .value_kind:     hidden_group_size_x
      - .offset:         30
        .size:           2
        .value_kind:     hidden_group_size_y
      - .offset:         32
        .size:           2
        .value_kind:     hidden_group_size_z
      - .offset:         34
        .size:           2
        .value_kind:     hidden_remainder_x
      - .offset:         36
        .size:           2
        .value_kind:     hidden_remainder_y
      - .offset:         38
        .size:           2
        .value_kind:     hidden_remainder_z
      - .offset:         56
        .size:           8
        .value_kind:     hidden_global_offset_x
      - .offset:         64
        .size:           8
        .value_kind:     hidden_global_offset_y
      - .offset:         72
        .size:           8
        .value_kind:     hidden_global_offset_z
      - .offset:         80
        .size:           2
        .value_kind:     hidden_grid_dims
    .group_segment_fixed_size: 0
    .kernarg_segment_align: 8
    .kernarg_segment_size: 272
    .language:       OpenCL C
    .language_version:
      - 2
      - 0
    .max_flat_workgroup_size: 1024
    .name:           _ZN9rocsparseL25kernel_set_identity_arrayILj1024EdlEEvT1_PT0_
    .private_segment_fixed_size: 0
    .sgpr_count:     8
    .sgpr_spill_count: 0
    .symbol:         _ZN9rocsparseL25kernel_set_identity_arrayILj1024EdlEEvT1_PT0_.kd
    .uniform_work_group_size: 1
    .uses_dynamic_stack: false
    .vgpr_count:     4
    .vgpr_spill_count: 0
    .wavefront_size: 32
  - .args:
      - .offset:         0
        .size:           8
        .value_kind:     by_value
      - .address_space:  global
        .offset:         8
        .size:           8
        .value_kind:     global_buffer
      - .address_space:  global
        .offset:         16
        .size:           8
        .value_kind:     global_buffer
      - .address_space:  global
        .offset:         24
        .size:           8
        .value_kind:     global_buffer
      - .offset:         32
        .size:           4
        .value_kind:     hidden_block_count_x
      - .offset:         36
        .size:           4
        .value_kind:     hidden_block_count_y
      - .offset:         40
        .size:           4
        .value_kind:     hidden_block_count_z
      - .offset:         44
        .size:           2
        .value_kind:     hidden_group_size_x
      - .offset:         46
        .size:           2
        .value_kind:     hidden_group_size_y
      - .offset:         48
        .size:           2
        .value_kind:     hidden_group_size_z
      - .offset:         50
        .size:           2
        .value_kind:     hidden_remainder_x
      - .offset:         52
        .size:           2
        .value_kind:     hidden_remainder_y
      - .offset:         54
        .size:           2
        .value_kind:     hidden_remainder_z
      - .offset:         72
        .size:           8
        .value_kind:     hidden_global_offset_x
      - .offset:         80
        .size:           8
        .value_kind:     hidden_global_offset_y
      - .offset:         88
        .size:           8
        .value_kind:     hidden_global_offset_z
      - .offset:         96
        .size:           2
        .value_kind:     hidden_grid_dims
    .group_segment_fixed_size: 0
    .kernarg_segment_align: 8
    .kernarg_segment_size: 288
    .language:       OpenCL C
    .language_version:
      - 2
      - 0
    .max_flat_workgroup_size: 1024
    .name:           _ZN9rocsparseL25kernel_get_permuted_arrayILj1024EdlEEvT1_PKT0_PS2_PKS1_
    .private_segment_fixed_size: 0
    .sgpr_count:     13
    .sgpr_spill_count: 0
    .symbol:         _ZN9rocsparseL25kernel_get_permuted_arrayILj1024EdlEEvT1_PKT0_PS2_PKS1_.kd
    .uniform_work_group_size: 1
    .uses_dynamic_stack: false
    .vgpr_count:     4
    .vgpr_spill_count: 0
    .wavefront_size: 32
  - .args:
      - .offset:         0
        .size:           8
        .value_kind:     by_value
      - .address_space:  global
        .offset:         8
        .size:           8
        .value_kind:     global_buffer
      - .address_space:  global
        .offset:         16
        .size:           8
        .value_kind:     global_buffer
      - .address_space:  global
        .offset:         24
        .size:           8
        .value_kind:     global_buffer
      - .offset:         32
        .size:           4
        .value_kind:     hidden_block_count_x
      - .offset:         36
        .size:           4
        .value_kind:     hidden_block_count_y
      - .offset:         40
        .size:           4
        .value_kind:     hidden_block_count_z
      - .offset:         44
        .size:           2
        .value_kind:     hidden_group_size_x
      - .offset:         46
        .size:           2
        .value_kind:     hidden_group_size_y
      - .offset:         48
        .size:           2
        .value_kind:     hidden_group_size_z
      - .offset:         50
        .size:           2
        .value_kind:     hidden_remainder_x
      - .offset:         52
        .size:           2
        .value_kind:     hidden_remainder_y
      - .offset:         54
        .size:           2
        .value_kind:     hidden_remainder_z
      - .offset:         72
        .size:           8
        .value_kind:     hidden_global_offset_x
      - .offset:         80
        .size:           8
        .value_kind:     hidden_global_offset_y
      - .offset:         88
        .size:           8
        .value_kind:     hidden_global_offset_z
      - .offset:         96
        .size:           2
        .value_kind:     hidden_grid_dims
    .group_segment_fixed_size: 0
    .kernarg_segment_align: 8
    .kernarg_segment_size: 288
    .language:       OpenCL C
    .language_version:
      - 2
      - 0
    .max_flat_workgroup_size: 1024
    .name:           _ZN9rocsparseL25kernel_set_permuted_arrayILj1024EdlEEvT1_PT0_PKS2_PKS1_
    .private_segment_fixed_size: 0
    .sgpr_count:     13
    .sgpr_spill_count: 0
    .symbol:         _ZN9rocsparseL25kernel_set_permuted_arrayILj1024EdlEEvT1_PT0_PKS2_PKS1_.kd
    .uniform_work_group_size: 1
    .uses_dynamic_stack: false
    .vgpr_count:     8
    .vgpr_spill_count: 0
    .wavefront_size: 32
  - .args:
      - .offset:         0
        .size:           8
        .value_kind:     by_value
      - .address_space:  global
        .offset:         8
        .size:           8
        .value_kind:     global_buffer
      - .offset:         16
        .size:           4
        .value_kind:     hidden_block_count_x
      - .offset:         20
        .size:           4
        .value_kind:     hidden_block_count_y
      - .offset:         24
        .size:           4
        .value_kind:     hidden_block_count_z
      - .offset:         28
        .size:           2
        .value_kind:     hidden_group_size_x
      - .offset:         30
        .size:           2
        .value_kind:     hidden_group_size_y
      - .offset:         32
        .size:           2
        .value_kind:     hidden_group_size_z
      - .offset:         34
        .size:           2
        .value_kind:     hidden_remainder_x
      - .offset:         36
        .size:           2
        .value_kind:     hidden_remainder_y
      - .offset:         38
        .size:           2
        .value_kind:     hidden_remainder_z
      - .offset:         56
        .size:           8
        .value_kind:     hidden_global_offset_x
      - .offset:         64
        .size:           8
        .value_kind:     hidden_global_offset_y
      - .offset:         72
        .size:           8
        .value_kind:     hidden_global_offset_z
      - .offset:         80
        .size:           2
        .value_kind:     hidden_grid_dims
    .group_segment_fixed_size: 0
    .kernarg_segment_align: 8
    .kernarg_segment_size: 272
    .language:       OpenCL C
    .language_version:
      - 2
      - 0
    .max_flat_workgroup_size: 1024
    .name:           _ZN9rocsparseL25kernel_set_identity_arrayILj1024E21rocsparse_complex_numIfElEEvT1_PT0_
    .private_segment_fixed_size: 0
    .sgpr_count:     8
    .sgpr_spill_count: 0
    .symbol:         _ZN9rocsparseL25kernel_set_identity_arrayILj1024E21rocsparse_complex_numIfElEEvT1_PT0_.kd
    .uniform_work_group_size: 1
    .uses_dynamic_stack: false
    .vgpr_count:     4
    .vgpr_spill_count: 0
    .wavefront_size: 32
  - .args:
      - .offset:         0
        .size:           8
        .value_kind:     by_value
      - .address_space:  global
        .offset:         8
        .size:           8
        .value_kind:     global_buffer
      - .address_space:  global
        .offset:         16
        .size:           8
        .value_kind:     global_buffer
      - .address_space:  global
        .offset:         24
        .size:           8
        .value_kind:     global_buffer
      - .offset:         32
        .size:           4
        .value_kind:     hidden_block_count_x
      - .offset:         36
        .size:           4
        .value_kind:     hidden_block_count_y
      - .offset:         40
        .size:           4
        .value_kind:     hidden_block_count_z
      - .offset:         44
        .size:           2
        .value_kind:     hidden_group_size_x
      - .offset:         46
        .size:           2
        .value_kind:     hidden_group_size_y
      - .offset:         48
        .size:           2
        .value_kind:     hidden_group_size_z
      - .offset:         50
        .size:           2
        .value_kind:     hidden_remainder_x
      - .offset:         52
        .size:           2
        .value_kind:     hidden_remainder_y
      - .offset:         54
        .size:           2
        .value_kind:     hidden_remainder_z
      - .offset:         72
        .size:           8
        .value_kind:     hidden_global_offset_x
      - .offset:         80
        .size:           8
        .value_kind:     hidden_global_offset_y
      - .offset:         88
        .size:           8
        .value_kind:     hidden_global_offset_z
      - .offset:         96
        .size:           2
        .value_kind:     hidden_grid_dims
    .group_segment_fixed_size: 0
    .kernarg_segment_align: 8
    .kernarg_segment_size: 288
    .language:       OpenCL C
    .language_version:
      - 2
      - 0
    .max_flat_workgroup_size: 1024
    .name:           _ZN9rocsparseL25kernel_get_permuted_arrayILj1024E21rocsparse_complex_numIfElEEvT1_PKT0_PS4_PKS3_
    .private_segment_fixed_size: 0
    .sgpr_count:     13
    .sgpr_spill_count: 0
    .symbol:         _ZN9rocsparseL25kernel_get_permuted_arrayILj1024E21rocsparse_complex_numIfElEEvT1_PKT0_PS4_PKS3_.kd
    .uniform_work_group_size: 1
    .uses_dynamic_stack: false
    .vgpr_count:     4
    .vgpr_spill_count: 0
    .wavefront_size: 32
  - .args:
      - .offset:         0
        .size:           8
        .value_kind:     by_value
      - .address_space:  global
        .offset:         8
        .size:           8
        .value_kind:     global_buffer
      - .address_space:  global
        .offset:         16
        .size:           8
        .value_kind:     global_buffer
      - .address_space:  global
        .offset:         24
        .size:           8
        .value_kind:     global_buffer
      - .offset:         32
        .size:           4
        .value_kind:     hidden_block_count_x
      - .offset:         36
        .size:           4
        .value_kind:     hidden_block_count_y
      - .offset:         40
        .size:           4
        .value_kind:     hidden_block_count_z
      - .offset:         44
        .size:           2
        .value_kind:     hidden_group_size_x
      - .offset:         46
        .size:           2
        .value_kind:     hidden_group_size_y
      - .offset:         48
        .size:           2
        .value_kind:     hidden_group_size_z
      - .offset:         50
        .size:           2
        .value_kind:     hidden_remainder_x
      - .offset:         52
        .size:           2
        .value_kind:     hidden_remainder_y
      - .offset:         54
        .size:           2
        .value_kind:     hidden_remainder_z
      - .offset:         72
        .size:           8
        .value_kind:     hidden_global_offset_x
      - .offset:         80
        .size:           8
        .value_kind:     hidden_global_offset_y
      - .offset:         88
        .size:           8
        .value_kind:     hidden_global_offset_z
      - .offset:         96
        .size:           2
        .value_kind:     hidden_grid_dims
    .group_segment_fixed_size: 0
    .kernarg_segment_align: 8
    .kernarg_segment_size: 288
    .language:       OpenCL C
    .language_version:
      - 2
      - 0
    .max_flat_workgroup_size: 1024
    .name:           _ZN9rocsparseL25kernel_set_permuted_arrayILj1024E21rocsparse_complex_numIfElEEvT1_PT0_PKS4_PKS3_
    .private_segment_fixed_size: 0
    .sgpr_count:     13
    .sgpr_spill_count: 0
    .symbol:         _ZN9rocsparseL25kernel_set_permuted_arrayILj1024E21rocsparse_complex_numIfElEEvT1_PT0_PKS4_PKS3_.kd
    .uniform_work_group_size: 1
    .uses_dynamic_stack: false
    .vgpr_count:     8
    .vgpr_spill_count: 0
    .wavefront_size: 32
  - .args:
      - .offset:         0
        .size:           8
        .value_kind:     by_value
      - .address_space:  global
        .offset:         8
        .size:           8
        .value_kind:     global_buffer
      - .offset:         16
        .size:           4
        .value_kind:     hidden_block_count_x
      - .offset:         20
        .size:           4
        .value_kind:     hidden_block_count_y
      - .offset:         24
        .size:           4
        .value_kind:     hidden_block_count_z
      - .offset:         28
        .size:           2
        .value_kind:     hidden_group_size_x
      - .offset:         30
        .size:           2
        .value_kind:     hidden_group_size_y
      - .offset:         32
        .size:           2
        .value_kind:     hidden_group_size_z
      - .offset:         34
        .size:           2
        .value_kind:     hidden_remainder_x
      - .offset:         36
        .size:           2
        .value_kind:     hidden_remainder_y
      - .offset:         38
        .size:           2
        .value_kind:     hidden_remainder_z
      - .offset:         56
        .size:           8
        .value_kind:     hidden_global_offset_x
      - .offset:         64
        .size:           8
        .value_kind:     hidden_global_offset_y
      - .offset:         72
        .size:           8
        .value_kind:     hidden_global_offset_z
      - .offset:         80
        .size:           2
        .value_kind:     hidden_grid_dims
    .group_segment_fixed_size: 0
    .kernarg_segment_align: 8
    .kernarg_segment_size: 272
    .language:       OpenCL C
    .language_version:
      - 2
      - 0
    .max_flat_workgroup_size: 1024
    .name:           _ZN9rocsparseL25kernel_set_identity_arrayILj1024E21rocsparse_complex_numIdElEEvT1_PT0_
    .private_segment_fixed_size: 0
    .sgpr_count:     8
    .sgpr_spill_count: 0
    .symbol:         _ZN9rocsparseL25kernel_set_identity_arrayILj1024E21rocsparse_complex_numIdElEEvT1_PT0_.kd
    .uniform_work_group_size: 1
    .uses_dynamic_stack: false
    .vgpr_count:     6
    .vgpr_spill_count: 0
    .wavefront_size: 32
  - .args:
      - .offset:         0
        .size:           8
        .value_kind:     by_value
      - .address_space:  global
        .offset:         8
        .size:           8
        .value_kind:     global_buffer
      - .address_space:  global
        .offset:         16
        .size:           8
        .value_kind:     global_buffer
      - .address_space:  global
        .offset:         24
        .size:           8
        .value_kind:     global_buffer
      - .offset:         32
        .size:           4
        .value_kind:     hidden_block_count_x
      - .offset:         36
        .size:           4
        .value_kind:     hidden_block_count_y
      - .offset:         40
        .size:           4
        .value_kind:     hidden_block_count_z
      - .offset:         44
        .size:           2
        .value_kind:     hidden_group_size_x
      - .offset:         46
        .size:           2
        .value_kind:     hidden_group_size_y
      - .offset:         48
        .size:           2
        .value_kind:     hidden_group_size_z
      - .offset:         50
        .size:           2
        .value_kind:     hidden_remainder_x
      - .offset:         52
        .size:           2
        .value_kind:     hidden_remainder_y
      - .offset:         54
        .size:           2
        .value_kind:     hidden_remainder_z
      - .offset:         72
        .size:           8
        .value_kind:     hidden_global_offset_x
      - .offset:         80
        .size:           8
        .value_kind:     hidden_global_offset_y
      - .offset:         88
        .size:           8
        .value_kind:     hidden_global_offset_z
      - .offset:         96
        .size:           2
        .value_kind:     hidden_grid_dims
    .group_segment_fixed_size: 0
    .kernarg_segment_align: 8
    .kernarg_segment_size: 288
    .language:       OpenCL C
    .language_version:
      - 2
      - 0
    .max_flat_workgroup_size: 1024
    .name:           _ZN9rocsparseL25kernel_get_permuted_arrayILj1024E21rocsparse_complex_numIdElEEvT1_PKT0_PS4_PKS3_
    .private_segment_fixed_size: 0
    .sgpr_count:     13
    .sgpr_spill_count: 0
    .symbol:         _ZN9rocsparseL25kernel_get_permuted_arrayILj1024E21rocsparse_complex_numIdElEEvT1_PKT0_PS4_PKS3_.kd
    .uniform_work_group_size: 1
    .uses_dynamic_stack: false
    .vgpr_count:     6
    .vgpr_spill_count: 0
    .wavefront_size: 32
  - .args:
      - .offset:         0
        .size:           8
        .value_kind:     by_value
      - .address_space:  global
        .offset:         8
        .size:           8
        .value_kind:     global_buffer
      - .address_space:  global
        .offset:         16
        .size:           8
        .value_kind:     global_buffer
      - .address_space:  global
        .offset:         24
        .size:           8
        .value_kind:     global_buffer
      - .offset:         32
        .size:           4
        .value_kind:     hidden_block_count_x
      - .offset:         36
        .size:           4
        .value_kind:     hidden_block_count_y
      - .offset:         40
        .size:           4
        .value_kind:     hidden_block_count_z
      - .offset:         44
        .size:           2
        .value_kind:     hidden_group_size_x
      - .offset:         46
        .size:           2
        .value_kind:     hidden_group_size_y
      - .offset:         48
        .size:           2
        .value_kind:     hidden_group_size_z
      - .offset:         50
        .size:           2
        .value_kind:     hidden_remainder_x
      - .offset:         52
        .size:           2
        .value_kind:     hidden_remainder_y
      - .offset:         54
        .size:           2
        .value_kind:     hidden_remainder_z
      - .offset:         72
        .size:           8
        .value_kind:     hidden_global_offset_x
      - .offset:         80
        .size:           8
        .value_kind:     hidden_global_offset_y
      - .offset:         88
        .size:           8
        .value_kind:     hidden_global_offset_z
      - .offset:         96
        .size:           2
        .value_kind:     hidden_grid_dims
    .group_segment_fixed_size: 0
    .kernarg_segment_align: 8
    .kernarg_segment_size: 288
    .language:       OpenCL C
    .language_version:
      - 2
      - 0
    .max_flat_workgroup_size: 1024
    .name:           _ZN9rocsparseL25kernel_set_permuted_arrayILj1024E21rocsparse_complex_numIdElEEvT1_PT0_PKS4_PKS3_
    .private_segment_fixed_size: 0
    .sgpr_count:     13
    .sgpr_spill_count: 0
    .symbol:         _ZN9rocsparseL25kernel_set_permuted_arrayILj1024E21rocsparse_complex_numIdElEEvT1_PT0_PKS4_PKS3_.kd
    .uniform_work_group_size: 1
    .uses_dynamic_stack: false
    .vgpr_count:     10
    .vgpr_spill_count: 0
    .wavefront_size: 32
  - .args:
      - .offset:         0
        .size:           8
        .value_kind:     by_value
      - .address_space:  global
        .offset:         8
        .size:           8
        .value_kind:     global_buffer
      - .offset:         16
        .size:           4
        .value_kind:     hidden_block_count_x
      - .offset:         20
        .size:           4
        .value_kind:     hidden_block_count_y
      - .offset:         24
        .size:           4
        .value_kind:     hidden_block_count_z
      - .offset:         28
        .size:           2
        .value_kind:     hidden_group_size_x
      - .offset:         30
        .size:           2
        .value_kind:     hidden_group_size_y
      - .offset:         32
        .size:           2
        .value_kind:     hidden_group_size_z
      - .offset:         34
        .size:           2
        .value_kind:     hidden_remainder_x
      - .offset:         36
        .size:           2
        .value_kind:     hidden_remainder_y
      - .offset:         38
        .size:           2
        .value_kind:     hidden_remainder_z
      - .offset:         56
        .size:           8
        .value_kind:     hidden_global_offset_x
      - .offset:         64
        .size:           8
        .value_kind:     hidden_global_offset_y
      - .offset:         72
        .size:           8
        .value_kind:     hidden_global_offset_z
      - .offset:         80
        .size:           2
        .value_kind:     hidden_grid_dims
    .group_segment_fixed_size: 0
    .kernarg_segment_align: 8
    .kernarg_segment_size: 272
    .language:       OpenCL C
    .language_version:
      - 2
      - 0
    .max_flat_workgroup_size: 256
    .name:           _ZN9rocsparseL25kernel_set_identity_arrayILj256EflEEvT1_PT0_
    .private_segment_fixed_size: 0
    .sgpr_count:     8
    .sgpr_spill_count: 0
    .symbol:         _ZN9rocsparseL25kernel_set_identity_arrayILj256EflEEvT1_PT0_.kd
    .uniform_work_group_size: 1
    .uses_dynamic_stack: false
    .vgpr_count:     3
    .vgpr_spill_count: 0
    .wavefront_size: 32
  - .args:
      - .offset:         0
        .size:           8
        .value_kind:     by_value
      - .address_space:  global
        .offset:         8
        .size:           8
        .value_kind:     global_buffer
      - .address_space:  global
        .offset:         16
        .size:           8
        .value_kind:     global_buffer
      - .address_space:  global
        .offset:         24
        .size:           8
        .value_kind:     global_buffer
      - .offset:         32
        .size:           4
        .value_kind:     hidden_block_count_x
      - .offset:         36
        .size:           4
        .value_kind:     hidden_block_count_y
      - .offset:         40
        .size:           4
        .value_kind:     hidden_block_count_z
      - .offset:         44
        .size:           2
        .value_kind:     hidden_group_size_x
      - .offset:         46
        .size:           2
        .value_kind:     hidden_group_size_y
      - .offset:         48
        .size:           2
        .value_kind:     hidden_group_size_z
      - .offset:         50
        .size:           2
        .value_kind:     hidden_remainder_x
      - .offset:         52
        .size:           2
        .value_kind:     hidden_remainder_y
      - .offset:         54
        .size:           2
        .value_kind:     hidden_remainder_z
      - .offset:         72
        .size:           8
        .value_kind:     hidden_global_offset_x
      - .offset:         80
        .size:           8
        .value_kind:     hidden_global_offset_y
      - .offset:         88
        .size:           8
        .value_kind:     hidden_global_offset_z
      - .offset:         96
        .size:           2
        .value_kind:     hidden_grid_dims
    .group_segment_fixed_size: 0
    .kernarg_segment_align: 8
    .kernarg_segment_size: 288
    .language:       OpenCL C
    .language_version:
      - 2
      - 0
    .max_flat_workgroup_size: 256
    .name:           _ZN9rocsparseL25kernel_get_permuted_arrayILj256EflEEvT1_PKT0_PS2_PKS1_
    .private_segment_fixed_size: 0
    .sgpr_count:     13
    .sgpr_spill_count: 0
    .symbol:         _ZN9rocsparseL25kernel_get_permuted_arrayILj256EflEEvT1_PKT0_PS2_PKS1_.kd
    .uniform_work_group_size: 1
    .uses_dynamic_stack: false
    .vgpr_count:     4
    .vgpr_spill_count: 0
    .wavefront_size: 32
  - .args:
      - .offset:         0
        .size:           8
        .value_kind:     by_value
      - .address_space:  global
        .offset:         8
        .size:           8
        .value_kind:     global_buffer
      - .address_space:  global
        .offset:         16
        .size:           8
        .value_kind:     global_buffer
      - .address_space:  global
        .offset:         24
        .size:           8
        .value_kind:     global_buffer
      - .offset:         32
        .size:           4
        .value_kind:     hidden_block_count_x
      - .offset:         36
        .size:           4
        .value_kind:     hidden_block_count_y
      - .offset:         40
        .size:           4
        .value_kind:     hidden_block_count_z
      - .offset:         44
        .size:           2
        .value_kind:     hidden_group_size_x
      - .offset:         46
        .size:           2
        .value_kind:     hidden_group_size_y
      - .offset:         48
        .size:           2
        .value_kind:     hidden_group_size_z
      - .offset:         50
        .size:           2
        .value_kind:     hidden_remainder_x
      - .offset:         52
        .size:           2
        .value_kind:     hidden_remainder_y
      - .offset:         54
        .size:           2
        .value_kind:     hidden_remainder_z
      - .offset:         72
        .size:           8
        .value_kind:     hidden_global_offset_x
      - .offset:         80
        .size:           8
        .value_kind:     hidden_global_offset_y
      - .offset:         88
        .size:           8
        .value_kind:     hidden_global_offset_z
      - .offset:         96
        .size:           2
        .value_kind:     hidden_grid_dims
    .group_segment_fixed_size: 0
    .kernarg_segment_align: 8
    .kernarg_segment_size: 288
    .language:       OpenCL C
    .language_version:
      - 2
      - 0
    .max_flat_workgroup_size: 256
    .name:           _ZN9rocsparseL25kernel_set_permuted_arrayILj256EflEEvT1_PT0_PKS2_PKS1_
    .private_segment_fixed_size: 0
    .sgpr_count:     13
    .sgpr_spill_count: 0
    .symbol:         _ZN9rocsparseL25kernel_set_permuted_arrayILj256EflEEvT1_PT0_PKS2_PKS1_.kd
    .uniform_work_group_size: 1
    .uses_dynamic_stack: false
    .vgpr_count:     7
    .vgpr_spill_count: 0
    .wavefront_size: 32
  - .args:
      - .offset:         0
        .size:           8
        .value_kind:     by_value
      - .address_space:  global
        .offset:         8
        .size:           8
        .value_kind:     global_buffer
      - .offset:         16
        .size:           4
        .value_kind:     hidden_block_count_x
      - .offset:         20
        .size:           4
        .value_kind:     hidden_block_count_y
      - .offset:         24
        .size:           4
        .value_kind:     hidden_block_count_z
      - .offset:         28
        .size:           2
        .value_kind:     hidden_group_size_x
      - .offset:         30
        .size:           2
        .value_kind:     hidden_group_size_y
      - .offset:         32
        .size:           2
        .value_kind:     hidden_group_size_z
      - .offset:         34
        .size:           2
        .value_kind:     hidden_remainder_x
      - .offset:         36
        .size:           2
        .value_kind:     hidden_remainder_y
      - .offset:         38
        .size:           2
        .value_kind:     hidden_remainder_z
      - .offset:         56
        .size:           8
        .value_kind:     hidden_global_offset_x
      - .offset:         64
        .size:           8
        .value_kind:     hidden_global_offset_y
      - .offset:         72
        .size:           8
        .value_kind:     hidden_global_offset_z
      - .offset:         80
        .size:           2
        .value_kind:     hidden_grid_dims
    .group_segment_fixed_size: 0
    .kernarg_segment_align: 8
    .kernarg_segment_size: 272
    .language:       OpenCL C
    .language_version:
      - 2
      - 0
    .max_flat_workgroup_size: 256
    .name:           _ZN9rocsparseL25kernel_set_identity_arrayILj256EdlEEvT1_PT0_
    .private_segment_fixed_size: 0
    .sgpr_count:     8
    .sgpr_spill_count: 0
    .symbol:         _ZN9rocsparseL25kernel_set_identity_arrayILj256EdlEEvT1_PT0_.kd
    .uniform_work_group_size: 1
    .uses_dynamic_stack: false
    .vgpr_count:     4
    .vgpr_spill_count: 0
    .wavefront_size: 32
  - .args:
      - .offset:         0
        .size:           8
        .value_kind:     by_value
      - .address_space:  global
        .offset:         8
        .size:           8
        .value_kind:     global_buffer
      - .address_space:  global
        .offset:         16
        .size:           8
        .value_kind:     global_buffer
      - .address_space:  global
        .offset:         24
        .size:           8
        .value_kind:     global_buffer
      - .offset:         32
        .size:           4
        .value_kind:     hidden_block_count_x
      - .offset:         36
        .size:           4
        .value_kind:     hidden_block_count_y
      - .offset:         40
        .size:           4
        .value_kind:     hidden_block_count_z
      - .offset:         44
        .size:           2
        .value_kind:     hidden_group_size_x
      - .offset:         46
        .size:           2
        .value_kind:     hidden_group_size_y
      - .offset:         48
        .size:           2
        .value_kind:     hidden_group_size_z
      - .offset:         50
        .size:           2
        .value_kind:     hidden_remainder_x
      - .offset:         52
        .size:           2
        .value_kind:     hidden_remainder_y
      - .offset:         54
        .size:           2
        .value_kind:     hidden_remainder_z
      - .offset:         72
        .size:           8
        .value_kind:     hidden_global_offset_x
      - .offset:         80
        .size:           8
        .value_kind:     hidden_global_offset_y
      - .offset:         88
        .size:           8
        .value_kind:     hidden_global_offset_z
      - .offset:         96
        .size:           2
        .value_kind:     hidden_grid_dims
    .group_segment_fixed_size: 0
    .kernarg_segment_align: 8
    .kernarg_segment_size: 288
    .language:       OpenCL C
    .language_version:
      - 2
      - 0
    .max_flat_workgroup_size: 256
    .name:           _ZN9rocsparseL25kernel_get_permuted_arrayILj256EdlEEvT1_PKT0_PS2_PKS1_
    .private_segment_fixed_size: 0
    .sgpr_count:     13
    .sgpr_spill_count: 0
    .symbol:         _ZN9rocsparseL25kernel_get_permuted_arrayILj256EdlEEvT1_PKT0_PS2_PKS1_.kd
    .uniform_work_group_size: 1
    .uses_dynamic_stack: false
    .vgpr_count:     4
    .vgpr_spill_count: 0
    .wavefront_size: 32
  - .args:
      - .offset:         0
        .size:           8
        .value_kind:     by_value
      - .address_space:  global
        .offset:         8
        .size:           8
        .value_kind:     global_buffer
      - .address_space:  global
        .offset:         16
        .size:           8
        .value_kind:     global_buffer
      - .address_space:  global
        .offset:         24
        .size:           8
        .value_kind:     global_buffer
      - .offset:         32
        .size:           4
        .value_kind:     hidden_block_count_x
      - .offset:         36
        .size:           4
        .value_kind:     hidden_block_count_y
      - .offset:         40
        .size:           4
        .value_kind:     hidden_block_count_z
      - .offset:         44
        .size:           2
        .value_kind:     hidden_group_size_x
      - .offset:         46
        .size:           2
        .value_kind:     hidden_group_size_y
      - .offset:         48
        .size:           2
        .value_kind:     hidden_group_size_z
      - .offset:         50
        .size:           2
        .value_kind:     hidden_remainder_x
      - .offset:         52
        .size:           2
        .value_kind:     hidden_remainder_y
      - .offset:         54
        .size:           2
        .value_kind:     hidden_remainder_z
      - .offset:         72
        .size:           8
        .value_kind:     hidden_global_offset_x
      - .offset:         80
        .size:           8
        .value_kind:     hidden_global_offset_y
      - .offset:         88
        .size:           8
        .value_kind:     hidden_global_offset_z
      - .offset:         96
        .size:           2
        .value_kind:     hidden_grid_dims
    .group_segment_fixed_size: 0
    .kernarg_segment_align: 8
    .kernarg_segment_size: 288
    .language:       OpenCL C
    .language_version:
      - 2
      - 0
    .max_flat_workgroup_size: 256
    .name:           _ZN9rocsparseL25kernel_set_permuted_arrayILj256EdlEEvT1_PT0_PKS2_PKS1_
    .private_segment_fixed_size: 0
    .sgpr_count:     13
    .sgpr_spill_count: 0
    .symbol:         _ZN9rocsparseL25kernel_set_permuted_arrayILj256EdlEEvT1_PT0_PKS2_PKS1_.kd
    .uniform_work_group_size: 1
    .uses_dynamic_stack: false
    .vgpr_count:     8
    .vgpr_spill_count: 0
    .wavefront_size: 32
  - .args:
      - .offset:         0
        .size:           8
        .value_kind:     by_value
      - .address_space:  global
        .offset:         8
        .size:           8
        .value_kind:     global_buffer
      - .offset:         16
        .size:           4
        .value_kind:     hidden_block_count_x
      - .offset:         20
        .size:           4
        .value_kind:     hidden_block_count_y
      - .offset:         24
        .size:           4
        .value_kind:     hidden_block_count_z
      - .offset:         28
        .size:           2
        .value_kind:     hidden_group_size_x
      - .offset:         30
        .size:           2
        .value_kind:     hidden_group_size_y
      - .offset:         32
        .size:           2
        .value_kind:     hidden_group_size_z
      - .offset:         34
        .size:           2
        .value_kind:     hidden_remainder_x
      - .offset:         36
        .size:           2
        .value_kind:     hidden_remainder_y
      - .offset:         38
        .size:           2
        .value_kind:     hidden_remainder_z
      - .offset:         56
        .size:           8
        .value_kind:     hidden_global_offset_x
      - .offset:         64
        .size:           8
        .value_kind:     hidden_global_offset_y
      - .offset:         72
        .size:           8
        .value_kind:     hidden_global_offset_z
      - .offset:         80
        .size:           2
        .value_kind:     hidden_grid_dims
    .group_segment_fixed_size: 0
    .kernarg_segment_align: 8
    .kernarg_segment_size: 272
    .language:       OpenCL C
    .language_version:
      - 2
      - 0
    .max_flat_workgroup_size: 256
    .name:           _ZN9rocsparseL25kernel_set_identity_arrayILj256E21rocsparse_complex_numIfElEEvT1_PT0_
    .private_segment_fixed_size: 0
    .sgpr_count:     8
    .sgpr_spill_count: 0
    .symbol:         _ZN9rocsparseL25kernel_set_identity_arrayILj256E21rocsparse_complex_numIfElEEvT1_PT0_.kd
    .uniform_work_group_size: 1
    .uses_dynamic_stack: false
    .vgpr_count:     4
    .vgpr_spill_count: 0
    .wavefront_size: 32
  - .args:
      - .offset:         0
        .size:           8
        .value_kind:     by_value
      - .address_space:  global
        .offset:         8
        .size:           8
        .value_kind:     global_buffer
      - .address_space:  global
        .offset:         16
        .size:           8
        .value_kind:     global_buffer
      - .address_space:  global
        .offset:         24
        .size:           8
        .value_kind:     global_buffer
      - .offset:         32
        .size:           4
        .value_kind:     hidden_block_count_x
      - .offset:         36
        .size:           4
        .value_kind:     hidden_block_count_y
      - .offset:         40
        .size:           4
        .value_kind:     hidden_block_count_z
      - .offset:         44
        .size:           2
        .value_kind:     hidden_group_size_x
      - .offset:         46
        .size:           2
        .value_kind:     hidden_group_size_y
      - .offset:         48
        .size:           2
        .value_kind:     hidden_group_size_z
      - .offset:         50
        .size:           2
        .value_kind:     hidden_remainder_x
      - .offset:         52
        .size:           2
        .value_kind:     hidden_remainder_y
      - .offset:         54
        .size:           2
        .value_kind:     hidden_remainder_z
      - .offset:         72
        .size:           8
        .value_kind:     hidden_global_offset_x
      - .offset:         80
        .size:           8
        .value_kind:     hidden_global_offset_y
      - .offset:         88
        .size:           8
        .value_kind:     hidden_global_offset_z
      - .offset:         96
        .size:           2
        .value_kind:     hidden_grid_dims
    .group_segment_fixed_size: 0
    .kernarg_segment_align: 8
    .kernarg_segment_size: 288
    .language:       OpenCL C
    .language_version:
      - 2
      - 0
    .max_flat_workgroup_size: 256
    .name:           _ZN9rocsparseL25kernel_get_permuted_arrayILj256E21rocsparse_complex_numIfElEEvT1_PKT0_PS4_PKS3_
    .private_segment_fixed_size: 0
    .sgpr_count:     13
    .sgpr_spill_count: 0
    .symbol:         _ZN9rocsparseL25kernel_get_permuted_arrayILj256E21rocsparse_complex_numIfElEEvT1_PKT0_PS4_PKS3_.kd
    .uniform_work_group_size: 1
    .uses_dynamic_stack: false
    .vgpr_count:     4
    .vgpr_spill_count: 0
    .wavefront_size: 32
  - .args:
      - .offset:         0
        .size:           8
        .value_kind:     by_value
      - .address_space:  global
        .offset:         8
        .size:           8
        .value_kind:     global_buffer
      - .address_space:  global
        .offset:         16
        .size:           8
        .value_kind:     global_buffer
      - .address_space:  global
        .offset:         24
        .size:           8
        .value_kind:     global_buffer
      - .offset:         32
        .size:           4
        .value_kind:     hidden_block_count_x
      - .offset:         36
        .size:           4
        .value_kind:     hidden_block_count_y
      - .offset:         40
        .size:           4
        .value_kind:     hidden_block_count_z
      - .offset:         44
        .size:           2
        .value_kind:     hidden_group_size_x
      - .offset:         46
        .size:           2
        .value_kind:     hidden_group_size_y
      - .offset:         48
        .size:           2
        .value_kind:     hidden_group_size_z
      - .offset:         50
        .size:           2
        .value_kind:     hidden_remainder_x
      - .offset:         52
        .size:           2
        .value_kind:     hidden_remainder_y
      - .offset:         54
        .size:           2
        .value_kind:     hidden_remainder_z
      - .offset:         72
        .size:           8
        .value_kind:     hidden_global_offset_x
      - .offset:         80
        .size:           8
        .value_kind:     hidden_global_offset_y
      - .offset:         88
        .size:           8
        .value_kind:     hidden_global_offset_z
      - .offset:         96
        .size:           2
        .value_kind:     hidden_grid_dims
    .group_segment_fixed_size: 0
    .kernarg_segment_align: 8
    .kernarg_segment_size: 288
    .language:       OpenCL C
    .language_version:
      - 2
      - 0
    .max_flat_workgroup_size: 256
    .name:           _ZN9rocsparseL25kernel_set_permuted_arrayILj256E21rocsparse_complex_numIfElEEvT1_PT0_PKS4_PKS3_
    .private_segment_fixed_size: 0
    .sgpr_count:     13
    .sgpr_spill_count: 0
    .symbol:         _ZN9rocsparseL25kernel_set_permuted_arrayILj256E21rocsparse_complex_numIfElEEvT1_PT0_PKS4_PKS3_.kd
    .uniform_work_group_size: 1
    .uses_dynamic_stack: false
    .vgpr_count:     8
    .vgpr_spill_count: 0
    .wavefront_size: 32
  - .args:
      - .offset:         0
        .size:           8
        .value_kind:     by_value
      - .address_space:  global
        .offset:         8
        .size:           8
        .value_kind:     global_buffer
      - .offset:         16
        .size:           4
        .value_kind:     hidden_block_count_x
      - .offset:         20
        .size:           4
        .value_kind:     hidden_block_count_y
      - .offset:         24
        .size:           4
        .value_kind:     hidden_block_count_z
      - .offset:         28
        .size:           2
        .value_kind:     hidden_group_size_x
      - .offset:         30
        .size:           2
        .value_kind:     hidden_group_size_y
      - .offset:         32
        .size:           2
        .value_kind:     hidden_group_size_z
      - .offset:         34
        .size:           2
        .value_kind:     hidden_remainder_x
      - .offset:         36
        .size:           2
        .value_kind:     hidden_remainder_y
      - .offset:         38
        .size:           2
        .value_kind:     hidden_remainder_z
      - .offset:         56
        .size:           8
        .value_kind:     hidden_global_offset_x
      - .offset:         64
        .size:           8
        .value_kind:     hidden_global_offset_y
      - .offset:         72
        .size:           8
        .value_kind:     hidden_global_offset_z
      - .offset:         80
        .size:           2
        .value_kind:     hidden_grid_dims
    .group_segment_fixed_size: 0
    .kernarg_segment_align: 8
    .kernarg_segment_size: 272
    .language:       OpenCL C
    .language_version:
      - 2
      - 0
    .max_flat_workgroup_size: 256
    .name:           _ZN9rocsparseL25kernel_set_identity_arrayILj256E21rocsparse_complex_numIdElEEvT1_PT0_
    .private_segment_fixed_size: 0
    .sgpr_count:     8
    .sgpr_spill_count: 0
    .symbol:         _ZN9rocsparseL25kernel_set_identity_arrayILj256E21rocsparse_complex_numIdElEEvT1_PT0_.kd
    .uniform_work_group_size: 1
    .uses_dynamic_stack: false
    .vgpr_count:     6
    .vgpr_spill_count: 0
    .wavefront_size: 32
  - .args:
      - .offset:         0
        .size:           8
        .value_kind:     by_value
      - .address_space:  global
        .offset:         8
        .size:           8
        .value_kind:     global_buffer
      - .address_space:  global
        .offset:         16
        .size:           8
        .value_kind:     global_buffer
      - .address_space:  global
        .offset:         24
        .size:           8
        .value_kind:     global_buffer
      - .offset:         32
        .size:           4
        .value_kind:     hidden_block_count_x
      - .offset:         36
        .size:           4
        .value_kind:     hidden_block_count_y
      - .offset:         40
        .size:           4
        .value_kind:     hidden_block_count_z
      - .offset:         44
        .size:           2
        .value_kind:     hidden_group_size_x
      - .offset:         46
        .size:           2
        .value_kind:     hidden_group_size_y
      - .offset:         48
        .size:           2
        .value_kind:     hidden_group_size_z
      - .offset:         50
        .size:           2
        .value_kind:     hidden_remainder_x
      - .offset:         52
        .size:           2
        .value_kind:     hidden_remainder_y
      - .offset:         54
        .size:           2
        .value_kind:     hidden_remainder_z
      - .offset:         72
        .size:           8
        .value_kind:     hidden_global_offset_x
      - .offset:         80
        .size:           8
        .value_kind:     hidden_global_offset_y
      - .offset:         88
        .size:           8
        .value_kind:     hidden_global_offset_z
      - .offset:         96
        .size:           2
        .value_kind:     hidden_grid_dims
    .group_segment_fixed_size: 0
    .kernarg_segment_align: 8
    .kernarg_segment_size: 288
    .language:       OpenCL C
    .language_version:
      - 2
      - 0
    .max_flat_workgroup_size: 256
    .name:           _ZN9rocsparseL25kernel_get_permuted_arrayILj256E21rocsparse_complex_numIdElEEvT1_PKT0_PS4_PKS3_
    .private_segment_fixed_size: 0
    .sgpr_count:     13
    .sgpr_spill_count: 0
    .symbol:         _ZN9rocsparseL25kernel_get_permuted_arrayILj256E21rocsparse_complex_numIdElEEvT1_PKT0_PS4_PKS3_.kd
    .uniform_work_group_size: 1
    .uses_dynamic_stack: false
    .vgpr_count:     6
    .vgpr_spill_count: 0
    .wavefront_size: 32
  - .args:
      - .offset:         0
        .size:           8
        .value_kind:     by_value
      - .address_space:  global
        .offset:         8
        .size:           8
        .value_kind:     global_buffer
      - .address_space:  global
        .offset:         16
        .size:           8
        .value_kind:     global_buffer
      - .address_space:  global
        .offset:         24
        .size:           8
        .value_kind:     global_buffer
      - .offset:         32
        .size:           4
        .value_kind:     hidden_block_count_x
      - .offset:         36
        .size:           4
        .value_kind:     hidden_block_count_y
      - .offset:         40
        .size:           4
        .value_kind:     hidden_block_count_z
      - .offset:         44
        .size:           2
        .value_kind:     hidden_group_size_x
      - .offset:         46
        .size:           2
        .value_kind:     hidden_group_size_y
      - .offset:         48
        .size:           2
        .value_kind:     hidden_group_size_z
      - .offset:         50
        .size:           2
        .value_kind:     hidden_remainder_x
      - .offset:         52
        .size:           2
        .value_kind:     hidden_remainder_y
      - .offset:         54
        .size:           2
        .value_kind:     hidden_remainder_z
      - .offset:         72
        .size:           8
        .value_kind:     hidden_global_offset_x
      - .offset:         80
        .size:           8
        .value_kind:     hidden_global_offset_y
      - .offset:         88
        .size:           8
        .value_kind:     hidden_global_offset_z
      - .offset:         96
        .size:           2
        .value_kind:     hidden_grid_dims
    .group_segment_fixed_size: 0
    .kernarg_segment_align: 8
    .kernarg_segment_size: 288
    .language:       OpenCL C
    .language_version:
      - 2
      - 0
    .max_flat_workgroup_size: 256
    .name:           _ZN9rocsparseL25kernel_set_permuted_arrayILj256E21rocsparse_complex_numIdElEEvT1_PT0_PKS4_PKS3_
    .private_segment_fixed_size: 0
    .sgpr_count:     13
    .sgpr_spill_count: 0
    .symbol:         _ZN9rocsparseL25kernel_set_permuted_arrayILj256E21rocsparse_complex_numIdElEEvT1_PT0_PKS4_PKS3_.kd
    .uniform_work_group_size: 1
    .uses_dynamic_stack: false
    .vgpr_count:     10
    .vgpr_spill_count: 0
    .wavefront_size: 32
  - .args:
      - .offset:         0
        .size:           8
        .value_kind:     by_value
      - .address_space:  global
        .offset:         8
        .size:           8
        .value_kind:     global_buffer
      - .offset:         16
        .size:           4
        .value_kind:     hidden_block_count_x
      - .offset:         20
        .size:           4
        .value_kind:     hidden_block_count_y
      - .offset:         24
        .size:           4
        .value_kind:     hidden_block_count_z
      - .offset:         28
        .size:           2
        .value_kind:     hidden_group_size_x
      - .offset:         30
        .size:           2
        .value_kind:     hidden_group_size_y
      - .offset:         32
        .size:           2
        .value_kind:     hidden_group_size_z
      - .offset:         34
        .size:           2
        .value_kind:     hidden_remainder_x
      - .offset:         36
        .size:           2
        .value_kind:     hidden_remainder_y
      - .offset:         38
        .size:           2
        .value_kind:     hidden_remainder_z
      - .offset:         56
        .size:           8
        .value_kind:     hidden_global_offset_x
      - .offset:         64
        .size:           8
        .value_kind:     hidden_global_offset_y
      - .offset:         72
        .size:           8
        .value_kind:     hidden_global_offset_z
      - .offset:         80
        .size:           2
        .value_kind:     hidden_grid_dims
    .group_segment_fixed_size: 0
    .kernarg_segment_align: 8
    .kernarg_segment_size: 272
    .language:       OpenCL C
    .language_version:
      - 2
      - 0
    .max_flat_workgroup_size: 512
    .name:           _ZN9rocsparseL25kernel_set_identity_arrayILj512EflEEvT1_PT0_
    .private_segment_fixed_size: 0
    .sgpr_count:     8
    .sgpr_spill_count: 0
    .symbol:         _ZN9rocsparseL25kernel_set_identity_arrayILj512EflEEvT1_PT0_.kd
    .uniform_work_group_size: 1
    .uses_dynamic_stack: false
    .vgpr_count:     3
    .vgpr_spill_count: 0
    .wavefront_size: 32
  - .args:
      - .offset:         0
        .size:           8
        .value_kind:     by_value
      - .address_space:  global
        .offset:         8
        .size:           8
        .value_kind:     global_buffer
      - .address_space:  global
        .offset:         16
        .size:           8
        .value_kind:     global_buffer
      - .address_space:  global
        .offset:         24
        .size:           8
        .value_kind:     global_buffer
      - .offset:         32
        .size:           4
        .value_kind:     hidden_block_count_x
      - .offset:         36
        .size:           4
        .value_kind:     hidden_block_count_y
      - .offset:         40
        .size:           4
        .value_kind:     hidden_block_count_z
      - .offset:         44
        .size:           2
        .value_kind:     hidden_group_size_x
      - .offset:         46
        .size:           2
        .value_kind:     hidden_group_size_y
      - .offset:         48
        .size:           2
        .value_kind:     hidden_group_size_z
      - .offset:         50
        .size:           2
        .value_kind:     hidden_remainder_x
      - .offset:         52
        .size:           2
        .value_kind:     hidden_remainder_y
      - .offset:         54
        .size:           2
        .value_kind:     hidden_remainder_z
      - .offset:         72
        .size:           8
        .value_kind:     hidden_global_offset_x
      - .offset:         80
        .size:           8
        .value_kind:     hidden_global_offset_y
      - .offset:         88
        .size:           8
        .value_kind:     hidden_global_offset_z
      - .offset:         96
        .size:           2
        .value_kind:     hidden_grid_dims
    .group_segment_fixed_size: 0
    .kernarg_segment_align: 8
    .kernarg_segment_size: 288
    .language:       OpenCL C
    .language_version:
      - 2
      - 0
    .max_flat_workgroup_size: 512
    .name:           _ZN9rocsparseL25kernel_get_permuted_arrayILj512EflEEvT1_PKT0_PS2_PKS1_
    .private_segment_fixed_size: 0
    .sgpr_count:     13
    .sgpr_spill_count: 0
    .symbol:         _ZN9rocsparseL25kernel_get_permuted_arrayILj512EflEEvT1_PKT0_PS2_PKS1_.kd
    .uniform_work_group_size: 1
    .uses_dynamic_stack: false
    .vgpr_count:     4
    .vgpr_spill_count: 0
    .wavefront_size: 32
  - .args:
      - .offset:         0
        .size:           8
        .value_kind:     by_value
      - .address_space:  global
        .offset:         8
        .size:           8
        .value_kind:     global_buffer
      - .address_space:  global
        .offset:         16
        .size:           8
        .value_kind:     global_buffer
      - .address_space:  global
        .offset:         24
        .size:           8
        .value_kind:     global_buffer
      - .offset:         32
        .size:           4
        .value_kind:     hidden_block_count_x
      - .offset:         36
        .size:           4
        .value_kind:     hidden_block_count_y
      - .offset:         40
        .size:           4
        .value_kind:     hidden_block_count_z
      - .offset:         44
        .size:           2
        .value_kind:     hidden_group_size_x
      - .offset:         46
        .size:           2
        .value_kind:     hidden_group_size_y
      - .offset:         48
        .size:           2
        .value_kind:     hidden_group_size_z
      - .offset:         50
        .size:           2
        .value_kind:     hidden_remainder_x
      - .offset:         52
        .size:           2
        .value_kind:     hidden_remainder_y
      - .offset:         54
        .size:           2
        .value_kind:     hidden_remainder_z
      - .offset:         72
        .size:           8
        .value_kind:     hidden_global_offset_x
      - .offset:         80
        .size:           8
        .value_kind:     hidden_global_offset_y
      - .offset:         88
        .size:           8
        .value_kind:     hidden_global_offset_z
      - .offset:         96
        .size:           2
        .value_kind:     hidden_grid_dims
    .group_segment_fixed_size: 0
    .kernarg_segment_align: 8
    .kernarg_segment_size: 288
    .language:       OpenCL C
    .language_version:
      - 2
      - 0
    .max_flat_workgroup_size: 512
    .name:           _ZN9rocsparseL25kernel_set_permuted_arrayILj512EflEEvT1_PT0_PKS2_PKS1_
    .private_segment_fixed_size: 0
    .sgpr_count:     13
    .sgpr_spill_count: 0
    .symbol:         _ZN9rocsparseL25kernel_set_permuted_arrayILj512EflEEvT1_PT0_PKS2_PKS1_.kd
    .uniform_work_group_size: 1
    .uses_dynamic_stack: false
    .vgpr_count:     7
    .vgpr_spill_count: 0
    .wavefront_size: 32
  - .args:
      - .offset:         0
        .size:           8
        .value_kind:     by_value
      - .address_space:  global
        .offset:         8
        .size:           8
        .value_kind:     global_buffer
      - .offset:         16
        .size:           4
        .value_kind:     hidden_block_count_x
      - .offset:         20
        .size:           4
        .value_kind:     hidden_block_count_y
      - .offset:         24
        .size:           4
        .value_kind:     hidden_block_count_z
      - .offset:         28
        .size:           2
        .value_kind:     hidden_group_size_x
      - .offset:         30
        .size:           2
        .value_kind:     hidden_group_size_y
      - .offset:         32
        .size:           2
        .value_kind:     hidden_group_size_z
      - .offset:         34
        .size:           2
        .value_kind:     hidden_remainder_x
      - .offset:         36
        .size:           2
        .value_kind:     hidden_remainder_y
      - .offset:         38
        .size:           2
        .value_kind:     hidden_remainder_z
      - .offset:         56
        .size:           8
        .value_kind:     hidden_global_offset_x
      - .offset:         64
        .size:           8
        .value_kind:     hidden_global_offset_y
      - .offset:         72
        .size:           8
        .value_kind:     hidden_global_offset_z
      - .offset:         80
        .size:           2
        .value_kind:     hidden_grid_dims
    .group_segment_fixed_size: 0
    .kernarg_segment_align: 8
    .kernarg_segment_size: 272
    .language:       OpenCL C
    .language_version:
      - 2
      - 0
    .max_flat_workgroup_size: 512
    .name:           _ZN9rocsparseL25kernel_set_identity_arrayILj512EdlEEvT1_PT0_
    .private_segment_fixed_size: 0
    .sgpr_count:     8
    .sgpr_spill_count: 0
    .symbol:         _ZN9rocsparseL25kernel_set_identity_arrayILj512EdlEEvT1_PT0_.kd
    .uniform_work_group_size: 1
    .uses_dynamic_stack: false
    .vgpr_count:     4
    .vgpr_spill_count: 0
    .wavefront_size: 32
  - .args:
      - .offset:         0
        .size:           8
        .value_kind:     by_value
      - .address_space:  global
        .offset:         8
        .size:           8
        .value_kind:     global_buffer
      - .address_space:  global
        .offset:         16
        .size:           8
        .value_kind:     global_buffer
      - .address_space:  global
        .offset:         24
        .size:           8
        .value_kind:     global_buffer
      - .offset:         32
        .size:           4
        .value_kind:     hidden_block_count_x
      - .offset:         36
        .size:           4
        .value_kind:     hidden_block_count_y
      - .offset:         40
        .size:           4
        .value_kind:     hidden_block_count_z
      - .offset:         44
        .size:           2
        .value_kind:     hidden_group_size_x
      - .offset:         46
        .size:           2
        .value_kind:     hidden_group_size_y
      - .offset:         48
        .size:           2
        .value_kind:     hidden_group_size_z
      - .offset:         50
        .size:           2
        .value_kind:     hidden_remainder_x
      - .offset:         52
        .size:           2
        .value_kind:     hidden_remainder_y
      - .offset:         54
        .size:           2
        .value_kind:     hidden_remainder_z
      - .offset:         72
        .size:           8
        .value_kind:     hidden_global_offset_x
      - .offset:         80
        .size:           8
        .value_kind:     hidden_global_offset_y
      - .offset:         88
        .size:           8
        .value_kind:     hidden_global_offset_z
      - .offset:         96
        .size:           2
        .value_kind:     hidden_grid_dims
    .group_segment_fixed_size: 0
    .kernarg_segment_align: 8
    .kernarg_segment_size: 288
    .language:       OpenCL C
    .language_version:
      - 2
      - 0
    .max_flat_workgroup_size: 512
    .name:           _ZN9rocsparseL25kernel_get_permuted_arrayILj512EdlEEvT1_PKT0_PS2_PKS1_
    .private_segment_fixed_size: 0
    .sgpr_count:     13
    .sgpr_spill_count: 0
    .symbol:         _ZN9rocsparseL25kernel_get_permuted_arrayILj512EdlEEvT1_PKT0_PS2_PKS1_.kd
    .uniform_work_group_size: 1
    .uses_dynamic_stack: false
    .vgpr_count:     4
    .vgpr_spill_count: 0
    .wavefront_size: 32
  - .args:
      - .offset:         0
        .size:           8
        .value_kind:     by_value
      - .address_space:  global
        .offset:         8
        .size:           8
        .value_kind:     global_buffer
      - .address_space:  global
        .offset:         16
        .size:           8
        .value_kind:     global_buffer
      - .address_space:  global
        .offset:         24
        .size:           8
        .value_kind:     global_buffer
      - .offset:         32
        .size:           4
        .value_kind:     hidden_block_count_x
      - .offset:         36
        .size:           4
        .value_kind:     hidden_block_count_y
      - .offset:         40
        .size:           4
        .value_kind:     hidden_block_count_z
      - .offset:         44
        .size:           2
        .value_kind:     hidden_group_size_x
      - .offset:         46
        .size:           2
        .value_kind:     hidden_group_size_y
      - .offset:         48
        .size:           2
        .value_kind:     hidden_group_size_z
      - .offset:         50
        .size:           2
        .value_kind:     hidden_remainder_x
      - .offset:         52
        .size:           2
        .value_kind:     hidden_remainder_y
      - .offset:         54
        .size:           2
        .value_kind:     hidden_remainder_z
      - .offset:         72
        .size:           8
        .value_kind:     hidden_global_offset_x
      - .offset:         80
        .size:           8
        .value_kind:     hidden_global_offset_y
      - .offset:         88
        .size:           8
        .value_kind:     hidden_global_offset_z
      - .offset:         96
        .size:           2
        .value_kind:     hidden_grid_dims
    .group_segment_fixed_size: 0
    .kernarg_segment_align: 8
    .kernarg_segment_size: 288
    .language:       OpenCL C
    .language_version:
      - 2
      - 0
    .max_flat_workgroup_size: 512
    .name:           _ZN9rocsparseL25kernel_set_permuted_arrayILj512EdlEEvT1_PT0_PKS2_PKS1_
    .private_segment_fixed_size: 0
    .sgpr_count:     13
    .sgpr_spill_count: 0
    .symbol:         _ZN9rocsparseL25kernel_set_permuted_arrayILj512EdlEEvT1_PT0_PKS2_PKS1_.kd
    .uniform_work_group_size: 1
    .uses_dynamic_stack: false
    .vgpr_count:     8
    .vgpr_spill_count: 0
    .wavefront_size: 32
  - .args:
      - .offset:         0
        .size:           8
        .value_kind:     by_value
      - .address_space:  global
        .offset:         8
        .size:           8
        .value_kind:     global_buffer
      - .offset:         16
        .size:           4
        .value_kind:     hidden_block_count_x
      - .offset:         20
        .size:           4
        .value_kind:     hidden_block_count_y
      - .offset:         24
        .size:           4
        .value_kind:     hidden_block_count_z
      - .offset:         28
        .size:           2
        .value_kind:     hidden_group_size_x
      - .offset:         30
        .size:           2
        .value_kind:     hidden_group_size_y
      - .offset:         32
        .size:           2
        .value_kind:     hidden_group_size_z
      - .offset:         34
        .size:           2
        .value_kind:     hidden_remainder_x
      - .offset:         36
        .size:           2
        .value_kind:     hidden_remainder_y
      - .offset:         38
        .size:           2
        .value_kind:     hidden_remainder_z
      - .offset:         56
        .size:           8
        .value_kind:     hidden_global_offset_x
      - .offset:         64
        .size:           8
        .value_kind:     hidden_global_offset_y
      - .offset:         72
        .size:           8
        .value_kind:     hidden_global_offset_z
      - .offset:         80
        .size:           2
        .value_kind:     hidden_grid_dims
    .group_segment_fixed_size: 0
    .kernarg_segment_align: 8
    .kernarg_segment_size: 272
    .language:       OpenCL C
    .language_version:
      - 2
      - 0
    .max_flat_workgroup_size: 512
    .name:           _ZN9rocsparseL25kernel_set_identity_arrayILj512E21rocsparse_complex_numIfElEEvT1_PT0_
    .private_segment_fixed_size: 0
    .sgpr_count:     8
    .sgpr_spill_count: 0
    .symbol:         _ZN9rocsparseL25kernel_set_identity_arrayILj512E21rocsparse_complex_numIfElEEvT1_PT0_.kd
    .uniform_work_group_size: 1
    .uses_dynamic_stack: false
    .vgpr_count:     4
    .vgpr_spill_count: 0
    .wavefront_size: 32
  - .args:
      - .offset:         0
        .size:           8
        .value_kind:     by_value
      - .address_space:  global
        .offset:         8
        .size:           8
        .value_kind:     global_buffer
      - .address_space:  global
        .offset:         16
        .size:           8
        .value_kind:     global_buffer
      - .address_space:  global
        .offset:         24
        .size:           8
        .value_kind:     global_buffer
      - .offset:         32
        .size:           4
        .value_kind:     hidden_block_count_x
      - .offset:         36
        .size:           4
        .value_kind:     hidden_block_count_y
      - .offset:         40
        .size:           4
        .value_kind:     hidden_block_count_z
      - .offset:         44
        .size:           2
        .value_kind:     hidden_group_size_x
      - .offset:         46
        .size:           2
        .value_kind:     hidden_group_size_y
      - .offset:         48
        .size:           2
        .value_kind:     hidden_group_size_z
      - .offset:         50
        .size:           2
        .value_kind:     hidden_remainder_x
      - .offset:         52
        .size:           2
        .value_kind:     hidden_remainder_y
      - .offset:         54
        .size:           2
        .value_kind:     hidden_remainder_z
      - .offset:         72
        .size:           8
        .value_kind:     hidden_global_offset_x
      - .offset:         80
        .size:           8
        .value_kind:     hidden_global_offset_y
      - .offset:         88
        .size:           8
        .value_kind:     hidden_global_offset_z
      - .offset:         96
        .size:           2
        .value_kind:     hidden_grid_dims
    .group_segment_fixed_size: 0
    .kernarg_segment_align: 8
    .kernarg_segment_size: 288
    .language:       OpenCL C
    .language_version:
      - 2
      - 0
    .max_flat_workgroup_size: 512
    .name:           _ZN9rocsparseL25kernel_get_permuted_arrayILj512E21rocsparse_complex_numIfElEEvT1_PKT0_PS4_PKS3_
    .private_segment_fixed_size: 0
    .sgpr_count:     13
    .sgpr_spill_count: 0
    .symbol:         _ZN9rocsparseL25kernel_get_permuted_arrayILj512E21rocsparse_complex_numIfElEEvT1_PKT0_PS4_PKS3_.kd
    .uniform_work_group_size: 1
    .uses_dynamic_stack: false
    .vgpr_count:     4
    .vgpr_spill_count: 0
    .wavefront_size: 32
  - .args:
      - .offset:         0
        .size:           8
        .value_kind:     by_value
      - .address_space:  global
        .offset:         8
        .size:           8
        .value_kind:     global_buffer
      - .address_space:  global
        .offset:         16
        .size:           8
        .value_kind:     global_buffer
      - .address_space:  global
        .offset:         24
        .size:           8
        .value_kind:     global_buffer
      - .offset:         32
        .size:           4
        .value_kind:     hidden_block_count_x
      - .offset:         36
        .size:           4
        .value_kind:     hidden_block_count_y
      - .offset:         40
        .size:           4
        .value_kind:     hidden_block_count_z
      - .offset:         44
        .size:           2
        .value_kind:     hidden_group_size_x
      - .offset:         46
        .size:           2
        .value_kind:     hidden_group_size_y
      - .offset:         48
        .size:           2
        .value_kind:     hidden_group_size_z
      - .offset:         50
        .size:           2
        .value_kind:     hidden_remainder_x
      - .offset:         52
        .size:           2
        .value_kind:     hidden_remainder_y
      - .offset:         54
        .size:           2
        .value_kind:     hidden_remainder_z
      - .offset:         72
        .size:           8
        .value_kind:     hidden_global_offset_x
      - .offset:         80
        .size:           8
        .value_kind:     hidden_global_offset_y
      - .offset:         88
        .size:           8
        .value_kind:     hidden_global_offset_z
      - .offset:         96
        .size:           2
        .value_kind:     hidden_grid_dims
    .group_segment_fixed_size: 0
    .kernarg_segment_align: 8
    .kernarg_segment_size: 288
    .language:       OpenCL C
    .language_version:
      - 2
      - 0
    .max_flat_workgroup_size: 512
    .name:           _ZN9rocsparseL25kernel_set_permuted_arrayILj512E21rocsparse_complex_numIfElEEvT1_PT0_PKS4_PKS3_
    .private_segment_fixed_size: 0
    .sgpr_count:     13
    .sgpr_spill_count: 0
    .symbol:         _ZN9rocsparseL25kernel_set_permuted_arrayILj512E21rocsparse_complex_numIfElEEvT1_PT0_PKS4_PKS3_.kd
    .uniform_work_group_size: 1
    .uses_dynamic_stack: false
    .vgpr_count:     8
    .vgpr_spill_count: 0
    .wavefront_size: 32
  - .args:
      - .offset:         0
        .size:           8
        .value_kind:     by_value
      - .address_space:  global
        .offset:         8
        .size:           8
        .value_kind:     global_buffer
      - .offset:         16
        .size:           4
        .value_kind:     hidden_block_count_x
      - .offset:         20
        .size:           4
        .value_kind:     hidden_block_count_y
      - .offset:         24
        .size:           4
        .value_kind:     hidden_block_count_z
      - .offset:         28
        .size:           2
        .value_kind:     hidden_group_size_x
      - .offset:         30
        .size:           2
        .value_kind:     hidden_group_size_y
      - .offset:         32
        .size:           2
        .value_kind:     hidden_group_size_z
      - .offset:         34
        .size:           2
        .value_kind:     hidden_remainder_x
      - .offset:         36
        .size:           2
        .value_kind:     hidden_remainder_y
      - .offset:         38
        .size:           2
        .value_kind:     hidden_remainder_z
      - .offset:         56
        .size:           8
        .value_kind:     hidden_global_offset_x
      - .offset:         64
        .size:           8
        .value_kind:     hidden_global_offset_y
      - .offset:         72
        .size:           8
        .value_kind:     hidden_global_offset_z
      - .offset:         80
        .size:           2
        .value_kind:     hidden_grid_dims
    .group_segment_fixed_size: 0
    .kernarg_segment_align: 8
    .kernarg_segment_size: 272
    .language:       OpenCL C
    .language_version:
      - 2
      - 0
    .max_flat_workgroup_size: 512
    .name:           _ZN9rocsparseL25kernel_set_identity_arrayILj512E21rocsparse_complex_numIdElEEvT1_PT0_
    .private_segment_fixed_size: 0
    .sgpr_count:     8
    .sgpr_spill_count: 0
    .symbol:         _ZN9rocsparseL25kernel_set_identity_arrayILj512E21rocsparse_complex_numIdElEEvT1_PT0_.kd
    .uniform_work_group_size: 1
    .uses_dynamic_stack: false
    .vgpr_count:     6
    .vgpr_spill_count: 0
    .wavefront_size: 32
  - .args:
      - .offset:         0
        .size:           8
        .value_kind:     by_value
      - .address_space:  global
        .offset:         8
        .size:           8
        .value_kind:     global_buffer
      - .address_space:  global
        .offset:         16
        .size:           8
        .value_kind:     global_buffer
      - .address_space:  global
        .offset:         24
        .size:           8
        .value_kind:     global_buffer
      - .offset:         32
        .size:           4
        .value_kind:     hidden_block_count_x
      - .offset:         36
        .size:           4
        .value_kind:     hidden_block_count_y
      - .offset:         40
        .size:           4
        .value_kind:     hidden_block_count_z
      - .offset:         44
        .size:           2
        .value_kind:     hidden_group_size_x
      - .offset:         46
        .size:           2
        .value_kind:     hidden_group_size_y
      - .offset:         48
        .size:           2
        .value_kind:     hidden_group_size_z
      - .offset:         50
        .size:           2
        .value_kind:     hidden_remainder_x
      - .offset:         52
        .size:           2
        .value_kind:     hidden_remainder_y
      - .offset:         54
        .size:           2
        .value_kind:     hidden_remainder_z
      - .offset:         72
        .size:           8
        .value_kind:     hidden_global_offset_x
      - .offset:         80
        .size:           8
        .value_kind:     hidden_global_offset_y
      - .offset:         88
        .size:           8
        .value_kind:     hidden_global_offset_z
      - .offset:         96
        .size:           2
        .value_kind:     hidden_grid_dims
    .group_segment_fixed_size: 0
    .kernarg_segment_align: 8
    .kernarg_segment_size: 288
    .language:       OpenCL C
    .language_version:
      - 2
      - 0
    .max_flat_workgroup_size: 512
    .name:           _ZN9rocsparseL25kernel_get_permuted_arrayILj512E21rocsparse_complex_numIdElEEvT1_PKT0_PS4_PKS3_
    .private_segment_fixed_size: 0
    .sgpr_count:     13
    .sgpr_spill_count: 0
    .symbol:         _ZN9rocsparseL25kernel_get_permuted_arrayILj512E21rocsparse_complex_numIdElEEvT1_PKT0_PS4_PKS3_.kd
    .uniform_work_group_size: 1
    .uses_dynamic_stack: false
    .vgpr_count:     6
    .vgpr_spill_count: 0
    .wavefront_size: 32
  - .args:
      - .offset:         0
        .size:           8
        .value_kind:     by_value
      - .address_space:  global
        .offset:         8
        .size:           8
        .value_kind:     global_buffer
      - .address_space:  global
        .offset:         16
        .size:           8
        .value_kind:     global_buffer
      - .address_space:  global
        .offset:         24
        .size:           8
        .value_kind:     global_buffer
      - .offset:         32
        .size:           4
        .value_kind:     hidden_block_count_x
      - .offset:         36
        .size:           4
        .value_kind:     hidden_block_count_y
      - .offset:         40
        .size:           4
        .value_kind:     hidden_block_count_z
      - .offset:         44
        .size:           2
        .value_kind:     hidden_group_size_x
      - .offset:         46
        .size:           2
        .value_kind:     hidden_group_size_y
      - .offset:         48
        .size:           2
        .value_kind:     hidden_group_size_z
      - .offset:         50
        .size:           2
        .value_kind:     hidden_remainder_x
      - .offset:         52
        .size:           2
        .value_kind:     hidden_remainder_y
      - .offset:         54
        .size:           2
        .value_kind:     hidden_remainder_z
      - .offset:         72
        .size:           8
        .value_kind:     hidden_global_offset_x
      - .offset:         80
        .size:           8
        .value_kind:     hidden_global_offset_y
      - .offset:         88
        .size:           8
        .value_kind:     hidden_global_offset_z
      - .offset:         96
        .size:           2
        .value_kind:     hidden_grid_dims
    .group_segment_fixed_size: 0
    .kernarg_segment_align: 8
    .kernarg_segment_size: 288
    .language:       OpenCL C
    .language_version:
      - 2
      - 0
    .max_flat_workgroup_size: 512
    .name:           _ZN9rocsparseL25kernel_set_permuted_arrayILj512E21rocsparse_complex_numIdElEEvT1_PT0_PKS4_PKS3_
    .private_segment_fixed_size: 0
    .sgpr_count:     13
    .sgpr_spill_count: 0
    .symbol:         _ZN9rocsparseL25kernel_set_permuted_arrayILj512E21rocsparse_complex_numIdElEEvT1_PT0_PKS4_PKS3_.kd
    .uniform_work_group_size: 1
    .uses_dynamic_stack: false
    .vgpr_count:     10
    .vgpr_spill_count: 0
    .wavefront_size: 32
  - .args:
      - .offset:         0
        .size:           8
        .value_kind:     by_value
      - .actual_access:  read_only
        .address_space:  global
        .offset:         8
        .size:           8
        .value_kind:     global_buffer
      - .actual_access:  read_only
        .address_space:  global
        .offset:         16
        .size:           8
        .value_kind:     global_buffer
      - .address_space:  global
        .offset:         24
        .size:           8
        .value_kind:     global_buffer
      - .actual_access:  read_only
        .address_space:  global
        .offset:         32
        .size:           8
        .value_kind:     global_buffer
    .group_segment_fixed_size: 4096
    .kernarg_segment_align: 8
    .kernarg_segment_size: 40
    .language:       OpenCL C
    .language_version:
      - 2
      - 0
    .max_flat_workgroup_size: 1024
    .name:           _ZN9rocsparseL18kernel_nrminf_diffILj1024EfEEvmPKT0_S3_PNS_15floating_traitsIS1_E6data_tEPKS6_
    .private_segment_fixed_size: 0
    .sgpr_count:     10
    .sgpr_spill_count: 0
    .symbol:         _ZN9rocsparseL18kernel_nrminf_diffILj1024EfEEvmPKT0_S3_PNS_15floating_traitsIS1_E6data_tEPKS6_.kd
    .uniform_work_group_size: 1
    .uses_dynamic_stack: false
    .vgpr_count:     7
    .vgpr_spill_count: 0
    .wavefront_size: 32
  - .args:
      - .offset:         0
        .size:           8
        .value_kind:     by_value
      - .actual_access:  read_only
        .address_space:  global
        .offset:         8
        .size:           8
        .value_kind:     global_buffer
      - .address_space:  global
        .offset:         16
        .size:           8
        .value_kind:     global_buffer
      - .actual_access:  read_only
        .address_space:  global
        .offset:         24
        .size:           8
        .value_kind:     global_buffer
    .group_segment_fixed_size: 4096
    .kernarg_segment_align: 8
    .kernarg_segment_size: 32
    .language:       OpenCL C
    .language_version:
      - 2
      - 0
    .max_flat_workgroup_size: 1024
    .name:           _ZN9rocsparseL13kernel_nrminfILj1024EfEEvmPKT0_PNS_15floating_traitsIS1_E6data_tEPKS6_
    .private_segment_fixed_size: 0
    .sgpr_count:     9
    .sgpr_spill_count: 0
    .symbol:         _ZN9rocsparseL13kernel_nrminfILj1024EfEEvmPKT0_PNS_15floating_traitsIS1_E6data_tEPKS6_.kd
    .uniform_work_group_size: 1
    .uses_dynamic_stack: false
    .vgpr_count:     6
    .vgpr_spill_count: 0
    .wavefront_size: 32
  - .args:
      - .offset:         0
        .size:           8
        .value_kind:     by_value
      - .actual_access:  read_only
        .address_space:  global
        .offset:         8
        .size:           8
        .value_kind:     global_buffer
      - .actual_access:  read_only
        .address_space:  global
        .offset:         16
        .size:           8
        .value_kind:     global_buffer
      - .address_space:  global
        .offset:         24
        .size:           8
        .value_kind:     global_buffer
      - .actual_access:  read_only
        .address_space:  global
        .offset:         32
        .size:           8
        .value_kind:     global_buffer
    .group_segment_fixed_size: 8192
    .kernarg_segment_align: 8
    .kernarg_segment_size: 40
    .language:       OpenCL C
    .language_version:
      - 2
      - 0
    .max_flat_workgroup_size: 1024
    .name:           _ZN9rocsparseL18kernel_nrminf_diffILj1024EdEEvmPKT0_S3_PNS_15floating_traitsIS1_E6data_tEPKS6_
    .private_segment_fixed_size: 0
    .sgpr_count:     10
    .sgpr_spill_count: 0
    .symbol:         _ZN9rocsparseL18kernel_nrminf_diffILj1024EdEEvmPKT0_S3_PNS_15floating_traitsIS1_E6data_tEPKS6_.kd
    .uniform_work_group_size: 1
    .uses_dynamic_stack: false
    .vgpr_count:     10
    .vgpr_spill_count: 0
    .wavefront_size: 32
  - .args:
      - .offset:         0
        .size:           8
        .value_kind:     by_value
      - .actual_access:  read_only
        .address_space:  global
        .offset:         8
        .size:           8
        .value_kind:     global_buffer
      - .address_space:  global
        .offset:         16
        .size:           8
        .value_kind:     global_buffer
      - .actual_access:  read_only
        .address_space:  global
        .offset:         24
        .size:           8
        .value_kind:     global_buffer
    .group_segment_fixed_size: 8192
    .kernarg_segment_align: 8
    .kernarg_segment_size: 32
    .language:       OpenCL C
    .language_version:
      - 2
      - 0
    .max_flat_workgroup_size: 1024
    .name:           _ZN9rocsparseL13kernel_nrminfILj1024EdEEvmPKT0_PNS_15floating_traitsIS1_E6data_tEPKS6_
    .private_segment_fixed_size: 0
    .sgpr_count:     9
    .sgpr_spill_count: 0
    .symbol:         _ZN9rocsparseL13kernel_nrminfILj1024EdEEvmPKT0_PNS_15floating_traitsIS1_E6data_tEPKS6_.kd
    .uniform_work_group_size: 1
    .uses_dynamic_stack: false
    .vgpr_count:     10
    .vgpr_spill_count: 0
    .wavefront_size: 32
  - .args:
      - .offset:         0
        .size:           8
        .value_kind:     by_value
      - .actual_access:  read_only
        .address_space:  global
        .offset:         8
        .size:           8
        .value_kind:     global_buffer
      - .actual_access:  read_only
        .address_space:  global
        .offset:         16
        .size:           8
        .value_kind:     global_buffer
      - .address_space:  global
        .offset:         24
        .size:           8
        .value_kind:     global_buffer
      - .actual_access:  read_only
        .address_space:  global
        .offset:         32
        .size:           8
        .value_kind:     global_buffer
    .group_segment_fixed_size: 4096
    .kernarg_segment_align: 8
    .kernarg_segment_size: 40
    .language:       OpenCL C
    .language_version:
      - 2
      - 0
    .max_flat_workgroup_size: 1024
    .name:           _ZN9rocsparseL18kernel_nrminf_diffILj1024E21rocsparse_complex_numIfEEEvmPKT0_S5_PNS_15floating_traitsIS3_E6data_tEPKS8_
    .private_segment_fixed_size: 0
    .sgpr_count:     10
    .sgpr_spill_count: 0
    .symbol:         _ZN9rocsparseL18kernel_nrminf_diffILj1024E21rocsparse_complex_numIfEEEvmPKT0_S5_PNS_15floating_traitsIS3_E6data_tEPKS8_.kd
    .uniform_work_group_size: 1
    .uses_dynamic_stack: false
    .vgpr_count:     10
    .vgpr_spill_count: 0
    .wavefront_size: 32
  - .args:
      - .offset:         0
        .size:           8
        .value_kind:     by_value
      - .actual_access:  read_only
        .address_space:  global
        .offset:         8
        .size:           8
        .value_kind:     global_buffer
      - .address_space:  global
        .offset:         16
        .size:           8
        .value_kind:     global_buffer
      - .actual_access:  read_only
        .address_space:  global
        .offset:         24
        .size:           8
        .value_kind:     global_buffer
    .group_segment_fixed_size: 4096
    .kernarg_segment_align: 8
    .kernarg_segment_size: 32
    .language:       OpenCL C
    .language_version:
      - 2
      - 0
    .max_flat_workgroup_size: 1024
    .name:           _ZN9rocsparseL13kernel_nrminfILj1024E21rocsparse_complex_numIfEEEvmPKT0_PNS_15floating_traitsIS3_E6data_tEPKS8_
    .private_segment_fixed_size: 0
    .sgpr_count:     9
    .sgpr_spill_count: 0
    .symbol:         _ZN9rocsparseL13kernel_nrminfILj1024E21rocsparse_complex_numIfEEEvmPKT0_PNS_15floating_traitsIS3_E6data_tEPKS8_.kd
    .uniform_work_group_size: 1
    .uses_dynamic_stack: false
    .vgpr_count:     8
    .vgpr_spill_count: 0
    .wavefront_size: 32
  - .args:
      - .offset:         0
        .size:           8
        .value_kind:     by_value
      - .actual_access:  read_only
        .address_space:  global
        .offset:         8
        .size:           8
        .value_kind:     global_buffer
      - .actual_access:  read_only
        .address_space:  global
        .offset:         16
        .size:           8
        .value_kind:     global_buffer
      - .address_space:  global
        .offset:         24
        .size:           8
        .value_kind:     global_buffer
      - .actual_access:  read_only
        .address_space:  global
        .offset:         32
        .size:           8
        .value_kind:     global_buffer
    .group_segment_fixed_size: 8192
    .kernarg_segment_align: 8
    .kernarg_segment_size: 40
    .language:       OpenCL C
    .language_version:
      - 2
      - 0
    .max_flat_workgroup_size: 1024
    .name:           _ZN9rocsparseL18kernel_nrminf_diffILj1024E21rocsparse_complex_numIdEEEvmPKT0_S5_PNS_15floating_traitsIS3_E6data_tEPKS8_
    .private_segment_fixed_size: 0
    .sgpr_count:     10
    .sgpr_spill_count: 0
    .symbol:         _ZN9rocsparseL18kernel_nrminf_diffILj1024E21rocsparse_complex_numIdEEEvmPKT0_S5_PNS_15floating_traitsIS3_E6data_tEPKS8_.kd
    .uniform_work_group_size: 1
    .uses_dynamic_stack: false
    .vgpr_count:     14
    .vgpr_spill_count: 0
    .wavefront_size: 32
  - .args:
      - .offset:         0
        .size:           8
        .value_kind:     by_value
      - .actual_access:  read_only
        .address_space:  global
        .offset:         8
        .size:           8
        .value_kind:     global_buffer
      - .address_space:  global
        .offset:         16
        .size:           8
        .value_kind:     global_buffer
      - .actual_access:  read_only
        .address_space:  global
        .offset:         24
        .size:           8
        .value_kind:     global_buffer
    .group_segment_fixed_size: 8192
    .kernarg_segment_align: 8
    .kernarg_segment_size: 32
    .language:       OpenCL C
    .language_version:
      - 2
      - 0
    .max_flat_workgroup_size: 1024
    .name:           _ZN9rocsparseL13kernel_nrminfILj1024E21rocsparse_complex_numIdEEEvmPKT0_PNS_15floating_traitsIS3_E6data_tEPKS8_
    .private_segment_fixed_size: 0
    .sgpr_count:     9
    .sgpr_spill_count: 0
    .symbol:         _ZN9rocsparseL13kernel_nrminfILj1024E21rocsparse_complex_numIdEEEvmPKT0_PNS_15floating_traitsIS3_E6data_tEPKS8_.kd
    .uniform_work_group_size: 1
    .uses_dynamic_stack: false
    .vgpr_count:     14
    .vgpr_spill_count: 0
    .wavefront_size: 32
  - .args:
      - .offset:         0
        .size:           8
        .value_kind:     by_value
      - .actual_access:  read_only
        .address_space:  global
        .offset:         8
        .size:           8
        .value_kind:     global_buffer
      - .actual_access:  read_only
        .address_space:  global
        .offset:         16
        .size:           8
        .value_kind:     global_buffer
      - .address_space:  global
        .offset:         24
        .size:           8
        .value_kind:     global_buffer
      - .actual_access:  read_only
        .address_space:  global
        .offset:         32
        .size:           8
        .value_kind:     global_buffer
    .group_segment_fixed_size: 2048
    .kernarg_segment_align: 8
    .kernarg_segment_size: 40
    .language:       OpenCL C
    .language_version:
      - 2
      - 0
    .max_flat_workgroup_size: 512
    .name:           _ZN9rocsparseL18kernel_nrminf_diffILj512EfEEvmPKT0_S3_PNS_15floating_traitsIS1_E6data_tEPKS6_
    .private_segment_fixed_size: 0
    .sgpr_count:     10
    .sgpr_spill_count: 0
    .symbol:         _ZN9rocsparseL18kernel_nrminf_diffILj512EfEEvmPKT0_S3_PNS_15floating_traitsIS1_E6data_tEPKS6_.kd
    .uniform_work_group_size: 1
    .uses_dynamic_stack: false
    .vgpr_count:     7
    .vgpr_spill_count: 0
    .wavefront_size: 32
  - .args:
      - .offset:         0
        .size:           8
        .value_kind:     by_value
      - .actual_access:  read_only
        .address_space:  global
        .offset:         8
        .size:           8
        .value_kind:     global_buffer
      - .address_space:  global
        .offset:         16
        .size:           8
        .value_kind:     global_buffer
      - .actual_access:  read_only
        .address_space:  global
        .offset:         24
        .size:           8
        .value_kind:     global_buffer
    .group_segment_fixed_size: 2048
    .kernarg_segment_align: 8
    .kernarg_segment_size: 32
    .language:       OpenCL C
    .language_version:
      - 2
      - 0
    .max_flat_workgroup_size: 512
    .name:           _ZN9rocsparseL13kernel_nrminfILj512EfEEvmPKT0_PNS_15floating_traitsIS1_E6data_tEPKS6_
    .private_segment_fixed_size: 0
    .sgpr_count:     9
    .sgpr_spill_count: 0
    .symbol:         _ZN9rocsparseL13kernel_nrminfILj512EfEEvmPKT0_PNS_15floating_traitsIS1_E6data_tEPKS6_.kd
    .uniform_work_group_size: 1
    .uses_dynamic_stack: false
    .vgpr_count:     6
    .vgpr_spill_count: 0
    .wavefront_size: 32
  - .args:
      - .offset:         0
        .size:           8
        .value_kind:     by_value
      - .actual_access:  read_only
        .address_space:  global
        .offset:         8
        .size:           8
        .value_kind:     global_buffer
      - .actual_access:  read_only
        .address_space:  global
        .offset:         16
        .size:           8
        .value_kind:     global_buffer
      - .address_space:  global
        .offset:         24
        .size:           8
        .value_kind:     global_buffer
      - .actual_access:  read_only
        .address_space:  global
        .offset:         32
        .size:           8
        .value_kind:     global_buffer
    .group_segment_fixed_size: 4096
    .kernarg_segment_align: 8
    .kernarg_segment_size: 40
    .language:       OpenCL C
    .language_version:
      - 2
      - 0
    .max_flat_workgroup_size: 512
    .name:           _ZN9rocsparseL18kernel_nrminf_diffILj512EdEEvmPKT0_S3_PNS_15floating_traitsIS1_E6data_tEPKS6_
    .private_segment_fixed_size: 0
    .sgpr_count:     10
    .sgpr_spill_count: 0
    .symbol:         _ZN9rocsparseL18kernel_nrminf_diffILj512EdEEvmPKT0_S3_PNS_15floating_traitsIS1_E6data_tEPKS6_.kd
    .uniform_work_group_size: 1
    .uses_dynamic_stack: false
    .vgpr_count:     10
    .vgpr_spill_count: 0
    .wavefront_size: 32
  - .args:
      - .offset:         0
        .size:           8
        .value_kind:     by_value
      - .actual_access:  read_only
        .address_space:  global
        .offset:         8
        .size:           8
        .value_kind:     global_buffer
      - .address_space:  global
        .offset:         16
        .size:           8
        .value_kind:     global_buffer
      - .actual_access:  read_only
        .address_space:  global
        .offset:         24
        .size:           8
        .value_kind:     global_buffer
    .group_segment_fixed_size: 4096
    .kernarg_segment_align: 8
    .kernarg_segment_size: 32
    .language:       OpenCL C
    .language_version:
      - 2
      - 0
    .max_flat_workgroup_size: 512
    .name:           _ZN9rocsparseL13kernel_nrminfILj512EdEEvmPKT0_PNS_15floating_traitsIS1_E6data_tEPKS6_
    .private_segment_fixed_size: 0
    .sgpr_count:     9
    .sgpr_spill_count: 0
    .symbol:         _ZN9rocsparseL13kernel_nrminfILj512EdEEvmPKT0_PNS_15floating_traitsIS1_E6data_tEPKS6_.kd
    .uniform_work_group_size: 1
    .uses_dynamic_stack: false
    .vgpr_count:     10
    .vgpr_spill_count: 0
    .wavefront_size: 32
  - .args:
      - .offset:         0
        .size:           8
        .value_kind:     by_value
      - .actual_access:  read_only
        .address_space:  global
        .offset:         8
        .size:           8
        .value_kind:     global_buffer
      - .actual_access:  read_only
        .address_space:  global
        .offset:         16
        .size:           8
        .value_kind:     global_buffer
      - .address_space:  global
        .offset:         24
        .size:           8
        .value_kind:     global_buffer
      - .actual_access:  read_only
        .address_space:  global
        .offset:         32
        .size:           8
        .value_kind:     global_buffer
    .group_segment_fixed_size: 2048
    .kernarg_segment_align: 8
    .kernarg_segment_size: 40
    .language:       OpenCL C
    .language_version:
      - 2
      - 0
    .max_flat_workgroup_size: 512
    .name:           _ZN9rocsparseL18kernel_nrminf_diffILj512E21rocsparse_complex_numIfEEEvmPKT0_S5_PNS_15floating_traitsIS3_E6data_tEPKS8_
    .private_segment_fixed_size: 0
    .sgpr_count:     10
    .sgpr_spill_count: 0
    .symbol:         _ZN9rocsparseL18kernel_nrminf_diffILj512E21rocsparse_complex_numIfEEEvmPKT0_S5_PNS_15floating_traitsIS3_E6data_tEPKS8_.kd
    .uniform_work_group_size: 1
    .uses_dynamic_stack: false
    .vgpr_count:     10
    .vgpr_spill_count: 0
    .wavefront_size: 32
  - .args:
      - .offset:         0
        .size:           8
        .value_kind:     by_value
      - .actual_access:  read_only
        .address_space:  global
        .offset:         8
        .size:           8
        .value_kind:     global_buffer
      - .address_space:  global
        .offset:         16
        .size:           8
        .value_kind:     global_buffer
      - .actual_access:  read_only
        .address_space:  global
        .offset:         24
        .size:           8
        .value_kind:     global_buffer
    .group_segment_fixed_size: 2048
    .kernarg_segment_align: 8
    .kernarg_segment_size: 32
    .language:       OpenCL C
    .language_version:
      - 2
      - 0
    .max_flat_workgroup_size: 512
    .name:           _ZN9rocsparseL13kernel_nrminfILj512E21rocsparse_complex_numIfEEEvmPKT0_PNS_15floating_traitsIS3_E6data_tEPKS8_
    .private_segment_fixed_size: 0
    .sgpr_count:     9
    .sgpr_spill_count: 0
    .symbol:         _ZN9rocsparseL13kernel_nrminfILj512E21rocsparse_complex_numIfEEEvmPKT0_PNS_15floating_traitsIS3_E6data_tEPKS8_.kd
    .uniform_work_group_size: 1
    .uses_dynamic_stack: false
    .vgpr_count:     8
    .vgpr_spill_count: 0
    .wavefront_size: 32
  - .args:
      - .offset:         0
        .size:           8
        .value_kind:     by_value
      - .actual_access:  read_only
        .address_space:  global
        .offset:         8
        .size:           8
        .value_kind:     global_buffer
      - .actual_access:  read_only
        .address_space:  global
        .offset:         16
        .size:           8
        .value_kind:     global_buffer
      - .address_space:  global
        .offset:         24
        .size:           8
        .value_kind:     global_buffer
      - .actual_access:  read_only
        .address_space:  global
        .offset:         32
        .size:           8
        .value_kind:     global_buffer
    .group_segment_fixed_size: 4096
    .kernarg_segment_align: 8
    .kernarg_segment_size: 40
    .language:       OpenCL C
    .language_version:
      - 2
      - 0
    .max_flat_workgroup_size: 512
    .name:           _ZN9rocsparseL18kernel_nrminf_diffILj512E21rocsparse_complex_numIdEEEvmPKT0_S5_PNS_15floating_traitsIS3_E6data_tEPKS8_
    .private_segment_fixed_size: 0
    .sgpr_count:     10
    .sgpr_spill_count: 0
    .symbol:         _ZN9rocsparseL18kernel_nrminf_diffILj512E21rocsparse_complex_numIdEEEvmPKT0_S5_PNS_15floating_traitsIS3_E6data_tEPKS8_.kd
    .uniform_work_group_size: 1
    .uses_dynamic_stack: false
    .vgpr_count:     14
    .vgpr_spill_count: 0
    .wavefront_size: 32
  - .args:
      - .offset:         0
        .size:           8
        .value_kind:     by_value
      - .actual_access:  read_only
        .address_space:  global
        .offset:         8
        .size:           8
        .value_kind:     global_buffer
      - .address_space:  global
        .offset:         16
        .size:           8
        .value_kind:     global_buffer
      - .actual_access:  read_only
        .address_space:  global
        .offset:         24
        .size:           8
        .value_kind:     global_buffer
    .group_segment_fixed_size: 4096
    .kernarg_segment_align: 8
    .kernarg_segment_size: 32
    .language:       OpenCL C
    .language_version:
      - 2
      - 0
    .max_flat_workgroup_size: 512
    .name:           _ZN9rocsparseL13kernel_nrminfILj512E21rocsparse_complex_numIdEEEvmPKT0_PNS_15floating_traitsIS3_E6data_tEPKS8_
    .private_segment_fixed_size: 0
    .sgpr_count:     9
    .sgpr_spill_count: 0
    .symbol:         _ZN9rocsparseL13kernel_nrminfILj512E21rocsparse_complex_numIdEEEvmPKT0_PNS_15floating_traitsIS3_E6data_tEPKS8_.kd
    .uniform_work_group_size: 1
    .uses_dynamic_stack: false
    .vgpr_count:     14
    .vgpr_spill_count: 0
    .wavefront_size: 32
  - .args:
      - .offset:         0
        .size:           8
        .value_kind:     by_value
      - .actual_access:  read_only
        .address_space:  global
        .offset:         8
        .size:           8
        .value_kind:     global_buffer
      - .actual_access:  read_only
        .address_space:  global
        .offset:         16
        .size:           8
        .value_kind:     global_buffer
      - .address_space:  global
        .offset:         24
        .size:           8
        .value_kind:     global_buffer
      - .actual_access:  read_only
        .address_space:  global
        .offset:         32
        .size:           8
        .value_kind:     global_buffer
    .group_segment_fixed_size: 1024
    .kernarg_segment_align: 8
    .kernarg_segment_size: 40
    .language:       OpenCL C
    .language_version:
      - 2
      - 0
    .max_flat_workgroup_size: 256
    .name:           _ZN9rocsparseL18kernel_nrminf_diffILj256EfEEvmPKT0_S3_PNS_15floating_traitsIS1_E6data_tEPKS6_
    .private_segment_fixed_size: 0
    .sgpr_count:     10
    .sgpr_spill_count: 0
    .symbol:         _ZN9rocsparseL18kernel_nrminf_diffILj256EfEEvmPKT0_S3_PNS_15floating_traitsIS1_E6data_tEPKS6_.kd
    .uniform_work_group_size: 1
    .uses_dynamic_stack: false
    .vgpr_count:     7
    .vgpr_spill_count: 0
    .wavefront_size: 32
  - .args:
      - .offset:         0
        .size:           8
        .value_kind:     by_value
      - .actual_access:  read_only
        .address_space:  global
        .offset:         8
        .size:           8
        .value_kind:     global_buffer
      - .address_space:  global
        .offset:         16
        .size:           8
        .value_kind:     global_buffer
      - .actual_access:  read_only
        .address_space:  global
        .offset:         24
        .size:           8
        .value_kind:     global_buffer
    .group_segment_fixed_size: 1024
    .kernarg_segment_align: 8
    .kernarg_segment_size: 32
    .language:       OpenCL C
    .language_version:
      - 2
      - 0
    .max_flat_workgroup_size: 256
    .name:           _ZN9rocsparseL13kernel_nrminfILj256EfEEvmPKT0_PNS_15floating_traitsIS1_E6data_tEPKS6_
    .private_segment_fixed_size: 0
    .sgpr_count:     9
    .sgpr_spill_count: 0
    .symbol:         _ZN9rocsparseL13kernel_nrminfILj256EfEEvmPKT0_PNS_15floating_traitsIS1_E6data_tEPKS6_.kd
    .uniform_work_group_size: 1
    .uses_dynamic_stack: false
    .vgpr_count:     6
    .vgpr_spill_count: 0
    .wavefront_size: 32
  - .args:
      - .offset:         0
        .size:           8
        .value_kind:     by_value
      - .actual_access:  read_only
        .address_space:  global
        .offset:         8
        .size:           8
        .value_kind:     global_buffer
      - .actual_access:  read_only
        .address_space:  global
        .offset:         16
        .size:           8
        .value_kind:     global_buffer
      - .address_space:  global
        .offset:         24
        .size:           8
        .value_kind:     global_buffer
      - .actual_access:  read_only
        .address_space:  global
        .offset:         32
        .size:           8
        .value_kind:     global_buffer
    .group_segment_fixed_size: 2048
    .kernarg_segment_align: 8
    .kernarg_segment_size: 40
    .language:       OpenCL C
    .language_version:
      - 2
      - 0
    .max_flat_workgroup_size: 256
    .name:           _ZN9rocsparseL18kernel_nrminf_diffILj256EdEEvmPKT0_S3_PNS_15floating_traitsIS1_E6data_tEPKS6_
    .private_segment_fixed_size: 0
    .sgpr_count:     10
    .sgpr_spill_count: 0
    .symbol:         _ZN9rocsparseL18kernel_nrminf_diffILj256EdEEvmPKT0_S3_PNS_15floating_traitsIS1_E6data_tEPKS6_.kd
    .uniform_work_group_size: 1
    .uses_dynamic_stack: false
    .vgpr_count:     10
    .vgpr_spill_count: 0
    .wavefront_size: 32
  - .args:
      - .offset:         0
        .size:           8
        .value_kind:     by_value
      - .actual_access:  read_only
        .address_space:  global
        .offset:         8
        .size:           8
        .value_kind:     global_buffer
      - .address_space:  global
        .offset:         16
        .size:           8
        .value_kind:     global_buffer
      - .actual_access:  read_only
        .address_space:  global
        .offset:         24
        .size:           8
        .value_kind:     global_buffer
    .group_segment_fixed_size: 2048
    .kernarg_segment_align: 8
    .kernarg_segment_size: 32
    .language:       OpenCL C
    .language_version:
      - 2
      - 0
    .max_flat_workgroup_size: 256
    .name:           _ZN9rocsparseL13kernel_nrminfILj256EdEEvmPKT0_PNS_15floating_traitsIS1_E6data_tEPKS6_
    .private_segment_fixed_size: 0
    .sgpr_count:     9
    .sgpr_spill_count: 0
    .symbol:         _ZN9rocsparseL13kernel_nrminfILj256EdEEvmPKT0_PNS_15floating_traitsIS1_E6data_tEPKS6_.kd
    .uniform_work_group_size: 1
    .uses_dynamic_stack: false
    .vgpr_count:     10
    .vgpr_spill_count: 0
    .wavefront_size: 32
  - .args:
      - .offset:         0
        .size:           8
        .value_kind:     by_value
      - .actual_access:  read_only
        .address_space:  global
        .offset:         8
        .size:           8
        .value_kind:     global_buffer
      - .actual_access:  read_only
        .address_space:  global
        .offset:         16
        .size:           8
        .value_kind:     global_buffer
      - .address_space:  global
        .offset:         24
        .size:           8
        .value_kind:     global_buffer
      - .actual_access:  read_only
        .address_space:  global
        .offset:         32
        .size:           8
        .value_kind:     global_buffer
    .group_segment_fixed_size: 1024
    .kernarg_segment_align: 8
    .kernarg_segment_size: 40
    .language:       OpenCL C
    .language_version:
      - 2
      - 0
    .max_flat_workgroup_size: 256
    .name:           _ZN9rocsparseL18kernel_nrminf_diffILj256E21rocsparse_complex_numIfEEEvmPKT0_S5_PNS_15floating_traitsIS3_E6data_tEPKS8_
    .private_segment_fixed_size: 0
    .sgpr_count:     10
    .sgpr_spill_count: 0
    .symbol:         _ZN9rocsparseL18kernel_nrminf_diffILj256E21rocsparse_complex_numIfEEEvmPKT0_S5_PNS_15floating_traitsIS3_E6data_tEPKS8_.kd
    .uniform_work_group_size: 1
    .uses_dynamic_stack: false
    .vgpr_count:     10
    .vgpr_spill_count: 0
    .wavefront_size: 32
  - .args:
      - .offset:         0
        .size:           8
        .value_kind:     by_value
      - .actual_access:  read_only
        .address_space:  global
        .offset:         8
        .size:           8
        .value_kind:     global_buffer
      - .address_space:  global
        .offset:         16
        .size:           8
        .value_kind:     global_buffer
      - .actual_access:  read_only
        .address_space:  global
        .offset:         24
        .size:           8
        .value_kind:     global_buffer
    .group_segment_fixed_size: 1024
    .kernarg_segment_align: 8
    .kernarg_segment_size: 32
    .language:       OpenCL C
    .language_version:
      - 2
      - 0
    .max_flat_workgroup_size: 256
    .name:           _ZN9rocsparseL13kernel_nrminfILj256E21rocsparse_complex_numIfEEEvmPKT0_PNS_15floating_traitsIS3_E6data_tEPKS8_
    .private_segment_fixed_size: 0
    .sgpr_count:     9
    .sgpr_spill_count: 0
    .symbol:         _ZN9rocsparseL13kernel_nrminfILj256E21rocsparse_complex_numIfEEEvmPKT0_PNS_15floating_traitsIS3_E6data_tEPKS8_.kd
    .uniform_work_group_size: 1
    .uses_dynamic_stack: false
    .vgpr_count:     8
    .vgpr_spill_count: 0
    .wavefront_size: 32
  - .args:
      - .offset:         0
        .size:           8
        .value_kind:     by_value
      - .actual_access:  read_only
        .address_space:  global
        .offset:         8
        .size:           8
        .value_kind:     global_buffer
      - .actual_access:  read_only
        .address_space:  global
        .offset:         16
        .size:           8
        .value_kind:     global_buffer
      - .address_space:  global
        .offset:         24
        .size:           8
        .value_kind:     global_buffer
      - .actual_access:  read_only
        .address_space:  global
        .offset:         32
        .size:           8
        .value_kind:     global_buffer
    .group_segment_fixed_size: 2048
    .kernarg_segment_align: 8
    .kernarg_segment_size: 40
    .language:       OpenCL C
    .language_version:
      - 2
      - 0
    .max_flat_workgroup_size: 256
    .name:           _ZN9rocsparseL18kernel_nrminf_diffILj256E21rocsparse_complex_numIdEEEvmPKT0_S5_PNS_15floating_traitsIS3_E6data_tEPKS8_
    .private_segment_fixed_size: 0
    .sgpr_count:     10
    .sgpr_spill_count: 0
    .symbol:         _ZN9rocsparseL18kernel_nrminf_diffILj256E21rocsparse_complex_numIdEEEvmPKT0_S5_PNS_15floating_traitsIS3_E6data_tEPKS8_.kd
    .uniform_work_group_size: 1
    .uses_dynamic_stack: false
    .vgpr_count:     14
    .vgpr_spill_count: 0
    .wavefront_size: 32
  - .args:
      - .offset:         0
        .size:           8
        .value_kind:     by_value
      - .actual_access:  read_only
        .address_space:  global
        .offset:         8
        .size:           8
        .value_kind:     global_buffer
      - .address_space:  global
        .offset:         16
        .size:           8
        .value_kind:     global_buffer
      - .actual_access:  read_only
        .address_space:  global
        .offset:         24
        .size:           8
        .value_kind:     global_buffer
    .group_segment_fixed_size: 2048
    .kernarg_segment_align: 8
    .kernarg_segment_size: 32
    .language:       OpenCL C
    .language_version:
      - 2
      - 0
    .max_flat_workgroup_size: 256
    .name:           _ZN9rocsparseL13kernel_nrminfILj256E21rocsparse_complex_numIdEEEvmPKT0_PNS_15floating_traitsIS3_E6data_tEPKS8_
    .private_segment_fixed_size: 0
    .sgpr_count:     9
    .sgpr_spill_count: 0
    .symbol:         _ZN9rocsparseL13kernel_nrminfILj256E21rocsparse_complex_numIdEEEvmPKT0_PNS_15floating_traitsIS3_E6data_tEPKS8_.kd
    .uniform_work_group_size: 1
    .uses_dynamic_stack: false
    .vgpr_count:     14
    .vgpr_spill_count: 0
    .wavefront_size: 32
amdhsa.target:   amdgcn-amd-amdhsa--gfx1250
amdhsa.version:
  - 1
  - 2
...

	.end_amdgpu_metadata
